;; amdgpu-corpus repo=ROCm/rocFFT kind=compiled arch=gfx1030 opt=O3
	.text
	.amdgcn_target "amdgcn-amd-amdhsa--gfx1030"
	.amdhsa_code_object_version 6
	.protected	bluestein_single_fwd_len750_dim1_half_op_CI_CI ; -- Begin function bluestein_single_fwd_len750_dim1_half_op_CI_CI
	.globl	bluestein_single_fwd_len750_dim1_half_op_CI_CI
	.p2align	8
	.type	bluestein_single_fwd_len750_dim1_half_op_CI_CI,@function
bluestein_single_fwd_len750_dim1_half_op_CI_CI: ; @bluestein_single_fwd_len750_dim1_half_op_CI_CI
; %bb.0:
	s_load_dwordx4 s[0:3], s[4:5], 0x28
	v_mul_u32_u24_e32 v1, 0x107, v0
	v_mov_b32_e32 v9, 0
	v_lshrrev_b32_e32 v1, 16, v1
	v_add_nc_u32_e32 v8, s6, v1
	s_waitcnt lgkmcnt(0)
	v_cmp_gt_u64_e32 vcc_lo, s[0:1], v[8:9]
	s_and_saveexec_b32 s0, vcc_lo
	s_cbranch_execz .LBB0_31
; %bb.1:
	s_clause 0x1
	s_load_dwordx2 s[10:11], s[4:5], 0x0
	s_load_dwordx2 s[8:9], s[4:5], 0x38
	v_mul_lo_u16 v1, 0xfa, v1
	v_sub_nc_u16 v0, v0, v1
	v_and_b32_e32 v23, 0xffff, v0
	v_cmp_gt_u16_e32 vcc_lo, 0x4b, v0
	v_lshlrev_b32_e32 v22, 2, v23
	s_and_saveexec_b32 s1, vcc_lo
	s_cbranch_execz .LBB0_3
; %bb.2:
	s_load_dwordx2 s[6:7], s[4:5], 0x18
	v_add_nc_u32_e32 v28, 0x600, v22
	s_waitcnt lgkmcnt(0)
	s_load_dwordx4 s[12:15], s[6:7], 0x0
	s_waitcnt lgkmcnt(0)
	v_mad_u64_u32 v[0:1], null, s14, v8, 0
	v_mad_u64_u32 v[2:3], null, s12, v23, 0
	s_mul_i32 s6, s13, 0x12c
	s_mul_hi_u32 s7, s12, 0x12c
	s_add_i32 s7, s7, s6
	v_mad_u64_u32 v[4:5], null, s15, v8, v[1:2]
	v_mad_u64_u32 v[5:6], null, s13, v23, v[3:4]
	v_mov_b32_e32 v1, v4
	v_lshlrev_b64 v[0:1], 2, v[0:1]
	v_mov_b32_e32 v3, v5
	v_add_co_u32 v0, s0, s2, v0
	v_lshlrev_b64 v[2:3], 2, v[2:3]
	v_add_co_ci_u32_e64 v1, s0, s3, v1, s0
	s_mul_i32 s2, s12, 0x12c
	v_add_co_u32 v0, s0, v0, v2
	v_add_co_ci_u32_e64 v1, s0, v1, v3, s0
	v_add_co_u32 v2, s0, v0, s2
	v_add_co_ci_u32_e64 v3, s0, s7, v1, s0
	v_add_co_u32 v6, s0, s10, v22
	v_add_co_ci_u32_e64 v7, null, s11, 0, s0
	v_add_co_u32 v4, s0, v2, s2
	s_clause 0x1
	global_load_dword v9, v[0:1], off
	global_load_dword v10, v[2:3], off
	v_add_co_ci_u32_e64 v5, s0, s7, v3, s0
	v_add_co_u32 v0, s0, v4, s2
	v_add_co_ci_u32_e64 v1, s0, s7, v5, s0
	s_clause 0x6
	global_load_dword v11, v22, s[10:11]
	global_load_dword v12, v22, s[10:11] offset:300
	global_load_dword v13, v22, s[10:11] offset:600
	;; [unrolled: 1-line block ×6, first 2 shown]
	s_clause 0x1
	global_load_dword v18, v[4:5], off
	global_load_dword v19, v[0:1], off
	v_add_co_u32 v0, s0, v0, s2
	v_add_co_ci_u32_e64 v1, s0, s7, v1, s0
	v_add_co_u32 v2, s0, 0x800, v6
	v_add_co_ci_u32_e64 v3, s0, 0, v7, s0
	v_add_co_u32 v4, s0, v0, s2
	v_add_co_ci_u32_e64 v5, s0, s7, v1, s0
	global_load_dword v6, v[0:1], off
	v_add_co_u32 v0, s0, v4, s2
	v_add_co_ci_u32_e64 v1, s0, s7, v5, s0
	global_load_dword v7, v[4:5], off
	v_add_co_u32 v4, s0, v0, s2
	v_add_co_ci_u32_e64 v5, s0, s7, v1, s0
	global_load_dword v20, v[0:1], off
	v_add_co_u32 v0, s0, v4, s2
	v_add_co_ci_u32_e64 v1, s0, s7, v5, s0
	global_load_dword v21, v[4:5], off
	v_add_co_u32 v4, s0, v0, s2
	v_add_co_ci_u32_e64 v5, s0, s7, v1, s0
	global_load_dword v24, v[2:3], off offset:52
	global_load_dword v0, v[0:1], off
	global_load_dword v1, v[4:5], off
	s_clause 0x1
	global_load_dword v4, v[2:3], off offset:352
	global_load_dword v2, v[2:3], off offset:652
	v_add_nc_u32_e32 v5, 0x400, v22
	s_waitcnt vmcnt(19)
	v_lshrrev_b32_e32 v3, 16, v9
	s_waitcnt vmcnt(17)
	v_mul_f16_sdwa v25, v11, v9 dst_sel:DWORD dst_unused:UNUSED_PAD src0_sel:WORD_1 src1_sel:DWORD
	v_lshrrev_b32_e32 v27, 16, v10
	s_waitcnt vmcnt(16)
	v_mul_f16_sdwa v29, v12, v10 dst_sel:DWORD dst_unused:UNUSED_PAD src0_sel:WORD_1 src1_sel:DWORD
	v_mul_f16_sdwa v26, v11, v3 dst_sel:DWORD dst_unused:UNUSED_PAD src0_sel:WORD_1 src1_sel:DWORD
	v_fma_f16 v3, v11, v3, -v25
	v_fma_f16 v25, v12, v27, -v29
	v_fmac_f16_e32 v26, v11, v9
	v_mul_f16_sdwa v9, v12, v27 dst_sel:DWORD dst_unused:UNUSED_PAD src0_sel:WORD_1 src1_sel:DWORD
	s_waitcnt vmcnt(10)
	v_lshrrev_b32_e32 v11, 16, v18
	v_mul_f16_sdwa v27, v13, v18 dst_sel:DWORD dst_unused:UNUSED_PAD src0_sel:WORD_1 src1_sel:DWORD
	v_pack_b32_f16 v3, v26, v3
	v_fmac_f16_e32 v9, v12, v10
	v_mul_f16_sdwa v10, v13, v11 dst_sel:DWORD dst_unused:UNUSED_PAD src0_sel:WORD_1 src1_sel:DWORD
	s_waitcnt vmcnt(9)
	v_lshrrev_b32_e32 v12, 16, v19
	v_fma_f16 v11, v13, v11, -v27
	v_mul_f16_sdwa v26, v14, v19 dst_sel:DWORD dst_unused:UNUSED_PAD src0_sel:WORD_1 src1_sel:DWORD
	v_pack_b32_f16 v9, v9, v25
	v_fmac_f16_e32 v10, v13, v18
	s_waitcnt vmcnt(8)
	v_lshrrev_b32_e32 v18, 16, v6
	v_mul_f16_sdwa v13, v14, v12 dst_sel:DWORD dst_unused:UNUSED_PAD src0_sel:WORD_1 src1_sel:DWORD
	v_mul_f16_sdwa v25, v15, v6 dst_sel:DWORD dst_unused:UNUSED_PAD src0_sel:WORD_1 src1_sel:DWORD
	v_fma_f16 v12, v14, v12, -v26
	v_pack_b32_f16 v10, v10, v11
	v_mul_f16_sdwa v11, v15, v18 dst_sel:DWORD dst_unused:UNUSED_PAD src0_sel:WORD_1 src1_sel:DWORD
	v_fmac_f16_e32 v13, v14, v19
	v_fma_f16 v14, v15, v18, -v25
	s_waitcnt vmcnt(7)
	v_lshrrev_b32_e32 v18, 16, v7
	v_mul_f16_sdwa v19, v16, v7 dst_sel:DWORD dst_unused:UNUSED_PAD src0_sel:WORD_1 src1_sel:DWORD
	v_fmac_f16_e32 v11, v15, v6
	s_waitcnt vmcnt(6)
	v_lshrrev_b32_e32 v6, 16, v20
	v_pack_b32_f16 v12, v13, v12
	v_mul_f16_sdwa v13, v16, v18 dst_sel:DWORD dst_unused:UNUSED_PAD src0_sel:WORD_1 src1_sel:DWORD
	v_fma_f16 v15, v16, v18, -v19
	v_mul_f16_sdwa v18, v17, v20 dst_sel:DWORD dst_unused:UNUSED_PAD src0_sel:WORD_1 src1_sel:DWORD
	v_pack_b32_f16 v11, v11, v14
	v_mul_f16_sdwa v14, v17, v6 dst_sel:DWORD dst_unused:UNUSED_PAD src0_sel:WORD_1 src1_sel:DWORD
	v_fmac_f16_e32 v13, v16, v7
	s_waitcnt vmcnt(5)
	v_lshrrev_b32_e32 v7, 16, v21
	v_fma_f16 v6, v17, v6, -v18
	s_waitcnt vmcnt(4)
	v_mul_f16_sdwa v16, v24, v21 dst_sel:DWORD dst_unused:UNUSED_PAD src0_sel:WORD_1 src1_sel:DWORD
	v_fmac_f16_e32 v14, v17, v20
	s_waitcnt vmcnt(3)
	v_lshrrev_b32_e32 v17, 16, v0
	s_waitcnt vmcnt(2)
	v_lshrrev_b32_e32 v19, 16, v1
	v_mul_f16_sdwa v18, v24, v7 dst_sel:DWORD dst_unused:UNUSED_PAD src0_sel:WORD_1 src1_sel:DWORD
	v_fma_f16 v7, v24, v7, -v16
	s_waitcnt vmcnt(1)
	v_mul_f16_sdwa v16, v4, v0 dst_sel:DWORD dst_unused:UNUSED_PAD src0_sel:WORD_1 src1_sel:DWORD
	v_mul_f16_sdwa v20, v4, v17 dst_sel:DWORD dst_unused:UNUSED_PAD src0_sel:WORD_1 src1_sel:DWORD
	s_waitcnt vmcnt(0)
	v_mul_f16_sdwa v25, v2, v1 dst_sel:DWORD dst_unused:UNUSED_PAD src0_sel:WORD_1 src1_sel:DWORD
	v_mul_f16_sdwa v26, v2, v19 dst_sel:DWORD dst_unused:UNUSED_PAD src0_sel:WORD_1 src1_sel:DWORD
	v_fmac_f16_e32 v18, v24, v21
	v_fma_f16 v16, v4, v17, -v16
	v_fmac_f16_e32 v20, v4, v0
	v_fma_f16 v0, v2, v19, -v25
	v_fmac_f16_e32 v26, v2, v1
	v_pack_b32_f16 v1, v13, v15
	v_pack_b32_f16 v2, v14, v6
	;; [unrolled: 1-line block ×5, first 2 shown]
	v_add_nc_u32_e32 v7, 0x800, v22
	ds_write2_b32 v22, v3, v9 offset1:75
	ds_write2_b32 v22, v10, v12 offset0:150 offset1:225
	ds_write2_b32 v5, v11, v1 offset0:44 offset1:119
	;; [unrolled: 1-line block ×4, first 2 shown]
.LBB0_3:
	s_or_b32 exec_lo, exec_lo, s1
	s_waitcnt lgkmcnt(0)
	s_barrier
	buffer_gl0_inv
                                        ; implicit-def: $vgpr9
                                        ; implicit-def: $vgpr6
                                        ; implicit-def: $vgpr4
                                        ; implicit-def: $vgpr2
                                        ; implicit-def: $vgpr0
	s_and_saveexec_b32 s0, vcc_lo
	s_cbranch_execz .LBB0_5
; %bb.4:
	v_add_nc_u32_e32 v0, 0x400, v22
	v_add_nc_u32_e32 v1, 0x600, v22
	;; [unrolled: 1-line block ×3, first 2 shown]
	ds_read2_b32 v[9:10], v22 offset1:75
	ds_read2_b32 v[6:7], v22 offset0:150 offset1:225
	ds_read2_b32 v[4:5], v0 offset0:44 offset1:119
	;; [unrolled: 1-line block ×4, first 2 shown]
.LBB0_5:
	s_or_b32 exec_lo, exec_lo, s0
	s_waitcnt lgkmcnt(1)
	v_add_f16_e32 v11, v4, v2
	s_waitcnt lgkmcnt(0)
	v_add_f16_e32 v17, v6, v0
	v_sub_f16_sdwa v13, v6, v0 dst_sel:DWORD dst_unused:UNUSED_PAD src0_sel:WORD_1 src1_sel:WORD_1
	v_sub_f16_sdwa v14, v4, v2 dst_sel:DWORD dst_unused:UNUSED_PAD src0_sel:WORD_1 src1_sel:WORD_1
	v_sub_f16_e32 v15, v0, v2
	v_fma_f16 v11, -0.5, v11, v9
	v_sub_f16_e32 v16, v6, v4
	v_fma_f16 v24, -0.5, v17, v9
	v_sub_f16_e32 v18, v2, v0
	v_sub_f16_e32 v19, v4, v6
	v_fmamk_f16 v21, v13, 0x3b9c, v11
	v_add_f16_e32 v15, v16, v15
	v_fmac_f16_e32 v11, 0xbb9c, v13
	v_fmamk_f16 v16, v14, 0xbb9c, v24
	v_fmac_f16_e32 v24, 0x3b9c, v14
	v_add_f16_sdwa v20, v4, v2 dst_sel:DWORD dst_unused:UNUSED_PAD src0_sel:WORD_1 src1_sel:WORD_1
	v_fmac_f16_e32 v21, 0x38b4, v14
	v_lshrrev_b32_e32 v25, 16, v9
	v_fmac_f16_e32 v11, 0xb8b4, v14
	v_fmac_f16_e32 v16, 0x38b4, v13
	v_add_f16_e32 v14, v19, v18
	v_fmac_f16_e32 v24, 0xb8b4, v13
	v_add_f16_sdwa v13, v6, v0 dst_sel:DWORD dst_unused:UNUSED_PAD src0_sel:WORD_1 src1_sel:WORD_1
	v_pk_add_f16 v12, v9, v6
	v_fma_f16 v26, -0.5, v20, v25
	v_sub_f16_e32 v9, v6, v0
	v_fmac_f16_e32 v16, 0x34f2, v14
	v_fmac_f16_e32 v24, 0x34f2, v14
	v_fmac_f16_e32 v25, -0.5, v13
	v_sub_f16_sdwa v13, v6, v4 dst_sel:DWORD dst_unused:UNUSED_PAD src0_sel:WORD_1 src1_sel:WORD_1
	v_sub_f16_sdwa v14, v0, v2 dst_sel:DWORD dst_unused:UNUSED_PAD src0_sel:WORD_1 src1_sel:WORD_1
	v_fmac_f16_e32 v21, 0x34f2, v15
	v_fmamk_f16 v27, v9, 0xbb9c, v26
	v_sub_f16_e32 v17, v4, v2
	v_fmac_f16_e32 v11, 0x34f2, v15
	v_fmac_f16_e32 v26, 0x3b9c, v9
	v_sub_f16_sdwa v6, v4, v6 dst_sel:DWORD dst_unused:UNUSED_PAD src0_sel:WORD_1 src1_sel:WORD_1
	v_sub_f16_sdwa v15, v2, v0 dst_sel:DWORD dst_unused:UNUSED_PAD src0_sel:WORD_1 src1_sel:WORD_1
	v_add_f16_e32 v13, v13, v14
	v_add_f16_e32 v14, v5, v3
	v_fmac_f16_e32 v27, 0xb8b4, v17
	v_fmamk_f16 v28, v17, 0x3b9c, v25
	v_fmac_f16_e32 v26, 0x38b4, v17
	v_add_f16_e32 v6, v6, v15
	v_fmac_f16_e32 v25, 0xbb9c, v17
	v_fma_f16 v14, -0.5, v14, v10
	v_sub_f16_sdwa v15, v7, v1 dst_sel:DWORD dst_unused:UNUSED_PAD src0_sel:WORD_1 src1_sel:WORD_1
	v_fmac_f16_e32 v28, 0xb8b4, v9
	v_fmac_f16_e32 v27, 0x34f2, v13
	;; [unrolled: 1-line block ×4, first 2 shown]
	v_fmamk_f16 v13, v15, 0x3b9c, v14
	v_add_f16_e32 v9, v7, v1
	v_sub_f16_sdwa v17, v5, v3 dst_sel:DWORD dst_unused:UNUSED_PAD src0_sel:WORD_1 src1_sel:WORD_1
	v_sub_f16_e32 v18, v1, v3
	v_sub_f16_e32 v19, v7, v5
	v_fmac_f16_e32 v14, 0xbb9c, v15
	v_fmac_f16_e32 v28, 0x34f2, v6
	v_fma_f16 v20, -0.5, v9, v10
	v_fmac_f16_e32 v25, 0x34f2, v6
	v_fmac_f16_e32 v13, 0x38b4, v17
	v_add_f16_e32 v6, v19, v18
	v_fmac_f16_e32 v14, 0xb8b4, v17
	v_sub_f16_e32 v9, v3, v1
	v_sub_f16_e32 v19, v5, v7
	v_fmamk_f16 v18, v17, 0xbb9c, v20
	v_pk_add_f16 v29, v10, v7
	v_fmac_f16_e32 v13, 0x34f2, v6
	v_fmac_f16_e32 v14, 0x34f2, v6
	v_add_f16_e32 v6, v19, v9
	v_fmac_f16_e32 v20, 0x3b9c, v17
	v_pk_add_f16 v4, v12, v4
	v_add_f16_sdwa v9, v5, v3 dst_sel:DWORD dst_unused:UNUSED_PAD src0_sel:WORD_1 src1_sel:WORD_1
	v_lshrrev_b32_e32 v12, 16, v10
	v_add_f16_sdwa v10, v7, v1 dst_sel:DWORD dst_unused:UNUSED_PAD src0_sel:WORD_1 src1_sel:WORD_1
	v_fmac_f16_e32 v18, 0x38b4, v15
	v_fmac_f16_e32 v20, 0xb8b4, v15
	v_pk_add_f16 v2, v4, v2
	v_fma_f16 v4, -0.5, v9, v12
	v_sub_f16_e32 v15, v5, v3
	v_fmac_f16_e32 v12, -0.5, v10
	v_fmac_f16_e32 v18, 0x34f2, v6
	v_sub_f16_e32 v9, v7, v1
	v_fmac_f16_e32 v20, 0x34f2, v6
	v_sub_f16_sdwa v6, v7, v5 dst_sel:DWORD dst_unused:UNUSED_PAD src0_sel:WORD_1 src1_sel:WORD_1
	v_fmamk_f16 v17, v15, 0x3b9c, v12
	v_sub_f16_sdwa v7, v5, v7 dst_sel:DWORD dst_unused:UNUSED_PAD src0_sel:WORD_1 src1_sel:WORD_1
	v_sub_f16_sdwa v10, v3, v1 dst_sel:DWORD dst_unused:UNUSED_PAD src0_sel:WORD_1 src1_sel:WORD_1
	v_fmac_f16_e32 v12, 0xbb9c, v15
	v_pk_add_f16 v0, v2, v0
	v_fmamk_f16 v2, v9, 0xbb9c, v4
	v_sub_f16_sdwa v19, v1, v3 dst_sel:DWORD dst_unused:UNUSED_PAD src0_sel:WORD_1 src1_sel:WORD_1
	v_fmac_f16_e32 v17, 0xb8b4, v9
	v_add_f16_e32 v7, v7, v10
	v_fmac_f16_e32 v4, 0x3b9c, v9
	v_fmac_f16_e32 v12, 0x38b4, v9
	v_add_f16_e32 v6, v6, v19
	v_pk_add_f16 v5, v29, v5
	v_fmac_f16_e32 v17, 0x34f2, v7
	v_fmac_f16_e32 v4, 0x38b4, v15
	;; [unrolled: 1-line block ×3, first 2 shown]
	v_mul_f16_e32 v7, 0x34f2, v20
	s_load_dwordx2 s[2:3], s[4:5], 0x8
	v_fmac_f16_e32 v2, 0xb8b4, v15
	v_pk_add_f16 v3, v5, v3
	v_fmac_f16_e32 v4, 0x34f2, v6
	v_fma_f16 v5, v12, 0x3b9c, -v7
	v_mul_f16_e32 v7, 0x3a79, v14
	v_fmac_f16_e32 v2, 0x34f2, v6
	v_mul_f16_e32 v15, 0x3a79, v13
	v_mul_f16_e32 v29, 0x3b9c, v17
	v_pk_add_f16 v1, v3, v1
	v_fma_f16 v3, v4, 0x38b4, -v7
	v_mul_f16_e32 v30, 0xb8b4, v13
	v_mul_f16_e32 v31, 0xbb9c, v18
	;; [unrolled: 1-line block ×4, first 2 shown]
	v_fmac_f16_e32 v15, 0x38b4, v2
	v_fmac_f16_e32 v29, 0x34f2, v18
	;; [unrolled: 1-line block ×4, first 2 shown]
	v_fma_f16 v2, v20, 0xbb9c, -v12
	v_fma_f16 v32, v14, 0xb8b4, -v4
	v_add_f16_e32 v6, v21, v15
	v_add_f16_e32 v9, v16, v29
	;; [unrolled: 1-line block ×4, first 2 shown]
	v_pk_add_f16 v4, v0, v1
	v_add_f16_e32 v17, v27, v30
	v_add_f16_e32 v20, v28, v31
	;; [unrolled: 1-line block ×4, first 2 shown]
	v_sub_f16_e32 v13, v21, v15
	v_sub_f16_e32 v14, v16, v29
	;; [unrolled: 1-line block ×4, first 2 shown]
	v_pk_add_f16 v12, v0, v1 neg_lo:[0,1] neg_hi:[0,1]
	v_sub_f16_e32 v30, v27, v30
	v_sub_f16_e32 v29, v28, v31
	;; [unrolled: 1-line block ×4, first 2 shown]
	v_mul_lo_u16 v26, v23, 10
	s_waitcnt lgkmcnt(0)
	s_barrier
	buffer_gl0_inv
	s_and_saveexec_b32 s0, vcc_lo
	s_cbranch_execz .LBB0_7
; %bb.6:
	v_mov_b32_e32 v2, 2
	v_perm_b32 v1, v18, v10, 0x5040100
	v_perm_b32 v0, v20, v9, 0x5040100
	;; [unrolled: 1-line block ×4, first 2 shown]
	v_lshlrev_b32_sdwa v21, v2, v26 dst_sel:DWORD dst_unused:UNUSED_PAD src0_sel:DWORD src1_sel:WORD_0
	v_perm_b32 v2, v30, v13, 0x5040100
	v_perm_b32 v11, v19, v7, 0x5040100
	;; [unrolled: 1-line block ×4, first 2 shown]
	ds_write2_b64 v21, v[4:5], v[0:1] offset1:1
	ds_write2_b64 v21, v[11:12], v[2:3] offset0:2 offset1:3
	ds_write_b64 v21, v[24:25] offset:32
.LBB0_7:
	s_or_b32 exec_lo, exec_lo, s0
	s_load_dwordx2 s[4:5], s[4:5], 0x20
	v_cmp_gt_u16_e64 s0, 0x96, v23
	s_waitcnt lgkmcnt(0)
	s_barrier
	buffer_gl0_inv
	s_and_saveexec_b32 s1, s0
	s_cbranch_execz .LBB0_9
; %bb.8:
	v_add_nc_u32_e32 v0, 0x400, v22
	ds_read2_b32 v[5:6], v22 offset1:150
	ds_read_b32 v7, v22 offset:2400
	ds_read2_b32 v[9:10], v0 offset0:44 offset1:194
	s_waitcnt lgkmcnt(2)
	v_lshrrev_b32_e32 v17, 16, v6
	s_waitcnt lgkmcnt(1)
	v_lshrrev_b32_e32 v19, 16, v7
	;; [unrolled: 2-line block ×3, first 2 shown]
	v_lshrrev_b32_e32 v18, 16, v10
	v_mov_b32_e32 v4, v5
.LBB0_9:
	s_or_b32 exec_lo, exec_lo, s1
	v_and_b32_e32 v5, 0xff, v23
	v_lshrrev_b32_e32 v36, 16, v4
	v_mul_lo_u16 v0, 0xcd, v5
	v_lshrrev_b16 v25, 11, v0
	v_mul_lo_u16 v0, v25, 10
	v_sub_nc_u16 v0, v23, v0
	v_and_b32_e32 v24, 0xff, v0
	v_lshlrev_b32_e32 v0, 4, v24
	global_load_dwordx4 v[0:3], v0, s[2:3]
	s_waitcnt vmcnt(0)
	s_barrier
	buffer_gl0_inv
	v_mul_f16_sdwa v11, v17, v0 dst_sel:DWORD dst_unused:UNUSED_PAD src0_sel:DWORD src1_sel:WORD_1
	v_mul_f16_sdwa v37, v6, v0 dst_sel:DWORD dst_unused:UNUSED_PAD src0_sel:DWORD src1_sel:WORD_1
	v_mul_f16_sdwa v21, v20, v1 dst_sel:DWORD dst_unused:UNUSED_PAD src0_sel:DWORD src1_sel:WORD_1
	v_mul_f16_sdwa v35, v9, v1 dst_sel:DWORD dst_unused:UNUSED_PAD src0_sel:DWORD src1_sel:WORD_1
	v_mul_f16_sdwa v33, v18, v2 dst_sel:DWORD dst_unused:UNUSED_PAD src0_sel:DWORD src1_sel:WORD_1
	v_mul_f16_sdwa v32, v10, v2 dst_sel:DWORD dst_unused:UNUSED_PAD src0_sel:DWORD src1_sel:WORD_1
	v_mul_f16_sdwa v34, v19, v3 dst_sel:DWORD dst_unused:UNUSED_PAD src0_sel:DWORD src1_sel:WORD_1
	v_mul_f16_sdwa v27, v7, v3 dst_sel:DWORD dst_unused:UNUSED_PAD src0_sel:DWORD src1_sel:WORD_1
	v_fmac_f16_e32 v37, v17, v0
	v_fma_f16 v17, v9, v1, -v21
	v_fmac_f16_e32 v35, v20, v1
	v_fma_f16 v9, v10, v2, -v33
	v_fmac_f16_e32 v27, v19, v3
	v_fmac_f16_e32 v32, v18, v2
	v_fma_f16 v10, v6, v0, -v11
	v_fma_f16 v6, v7, v3, -v34
	v_add_f16_e32 v7, v17, v9
	v_add_f16_e32 v43, v37, v27
	;; [unrolled: 1-line block ×3, first 2 shown]
	v_sub_f16_e32 v11, v10, v17
	v_sub_f16_e32 v18, v6, v9
	v_add_f16_e32 v20, v10, v6
	v_sub_f16_e32 v19, v37, v27
	v_sub_f16_e32 v38, v35, v32
	;; [unrolled: 1-line block ×6, first 2 shown]
	v_fma_f16 v7, -0.5, v7, v4
	v_add_f16_e32 v45, v11, v18
	v_fma_f16 v18, -0.5, v20, v4
	v_fma_f16 v41, -0.5, v34, v36
	;; [unrolled: 1-line block ×3, first 2 shown]
	v_sub_f16_e32 v42, v37, v35
	v_sub_f16_e32 v44, v27, v32
	;; [unrolled: 1-line block ×4, first 2 shown]
	v_add_f16_e32 v20, v21, v33
	v_fmamk_f16 v11, v19, 0xbb9c, v7
	v_fmamk_f16 v34, v38, 0x3b9c, v18
	v_fmamk_f16 v21, v40, 0x3b9c, v41
	v_fmamk_f16 v33, v39, 0xbb9c, v43
	v_add_f16_e32 v42, v42, v44
	v_add_f16_e32 v44, v46, v47
	v_fmac_f16_e32 v11, 0xb8b4, v38
	v_fmac_f16_e32 v34, 0xb8b4, v19
	;; [unrolled: 1-line block ×8, first 2 shown]
	s_and_saveexec_b32 s1, s0
	s_cbranch_execz .LBB0_11
; %bb.10:
	v_mul_f16_e32 v46, 0x3b9c, v19
	v_mul_f16_e32 v49, 0x3b9c, v40
	v_add_f16_e32 v36, v36, v37
	v_add_f16_e32 v4, v4, v10
	v_mul_f16_e32 v47, 0x38b4, v38
	v_mul_f16_e32 v48, 0x3b9c, v39
	;; [unrolled: 1-line block ×4, first 2 shown]
	v_sub_f16_e32 v41, v41, v49
	v_add_f16_e32 v35, v36, v35
	v_add_f16_e32 v4, v4, v17
	;; [unrolled: 1-line block ×3, first 2 shown]
	v_mul_f16_e32 v19, 0x38b4, v19
	v_mul_f16_e32 v40, 0x38b4, v40
	v_add_f16_e32 v43, v48, v43
	v_sub_f16_e32 v17, v18, v38
	v_mul_f16_e32 v45, 0x34f2, v45
	v_mul_f16_e32 v42, 0x34f2, v42
	v_sub_f16_e32 v37, v41, v39
	v_add_f16_e32 v18, v35, v32
	v_mov_b32_e32 v32, 50
	v_add_f16_e32 v4, v4, v9
	v_add_f16_e32 v7, v47, v7
	v_mul_f16_e32 v44, 0x34f2, v44
	v_sub_f16_e32 v40, v43, v40
	v_mul_f16_e32 v10, 0x34f2, v20
	v_add_f16_e32 v9, v19, v17
	v_add_f16_e32 v36, v42, v37
	;; [unrolled: 1-line block ×3, first 2 shown]
	v_mul_u32_u24_sdwa v18, v25, v32 dst_sel:DWORD dst_unused:UNUSED_PAD src0_sel:WORD_0 src1_sel:DWORD
	v_add_f16_e32 v4, v4, v6
	v_add_f16_e32 v6, v45, v7
	;; [unrolled: 1-line block ×4, first 2 shown]
	v_add_lshl_u32 v9, v18, v24, 2
	v_pack_b32_f16 v4, v4, v17
	v_pack_b32_f16 v6, v6, v36
	v_perm_b32 v10, v33, v34, 0x5040100
	v_pack_b32_f16 v7, v7, v20
	v_perm_b32 v17, v21, v11, 0x5040100
	ds_write2_b32 v9, v4, v6 offset1:10
	ds_write2_b32 v9, v7, v10 offset0:20 offset1:30
	ds_write_b32 v9, v17 offset:160
.LBB0_11:
	s_or_b32 exec_lo, exec_lo, s1
	v_mul_lo_u16 v4, v5, 41
	s_load_dwordx4 s[4:7], s[4:5], 0x0
	s_waitcnt lgkmcnt(0)
	s_barrier
	buffer_gl0_inv
	v_lshrrev_b16 v4, 11, v4
	v_mov_b32_e32 v35, 0x96
	v_mul_lo_u16 v5, v4, 50
	v_mul_u32_u24_sdwa v4, v4, v35 dst_sel:DWORD dst_unused:UNUSED_PAD src0_sel:WORD_0 src1_sel:DWORD
	v_sub_nc_u16 v5, v23, v5
	v_and_b32_e32 v5, 0xff, v5
	v_lshlrev_b32_e32 v6, 3, v5
	global_load_dwordx2 v[9:10], v6, s[2:3] offset:160
	ds_read2_b32 v[19:20], v22 offset1:250
	ds_read_b32 v6, v22 offset:2000
	s_waitcnt vmcnt(0) lgkmcnt(0)
	s_barrier
	buffer_gl0_inv
	v_lshrrev_b32_e32 v7, 16, v20
	v_lshrrev_b32_e32 v17, 16, v6
	;; [unrolled: 1-line block ×3, first 2 shown]
	v_mul_f16_sdwa v18, v7, v9 dst_sel:DWORD dst_unused:UNUSED_PAD src0_sel:DWORD src1_sel:WORD_1
	v_mul_f16_sdwa v27, v17, v10 dst_sel:DWORD dst_unused:UNUSED_PAD src0_sel:DWORD src1_sel:WORD_1
	;; [unrolled: 1-line block ×4, first 2 shown]
	v_fma_f16 v18, v20, v9, -v18
	v_fma_f16 v6, v6, v10, -v27
	v_fmac_f16_e32 v32, v7, v9
	v_fmac_f16_e32 v36, v17, v10
	v_add_f16_e32 v17, v19, v18
	v_add_f16_e32 v7, v18, v6
	;; [unrolled: 1-line block ×3, first 2 shown]
	v_sub_f16_e32 v27, v32, v36
	v_add_f16_e32 v32, v35, v32
	v_fmac_f16_e32 v19, -0.5, v7
	v_sub_f16_e32 v7, v18, v6
	v_fmac_f16_e32 v35, -0.5, v20
	v_add_f16_e32 v17, v17, v6
	v_add_f16_e32 v32, v32, v36
	v_fmamk_f16 v18, v27, 0x3aee, v19
	v_fmac_f16_e32 v19, 0xbaee, v27
	v_fmamk_f16 v36, v7, 0xbaee, v35
	v_fmac_f16_e32 v35, 0x3aee, v7
	v_add_lshl_u32 v27, v4, v5, 2
	v_pack_b32_f16 v4, v17, v32
	v_pack_b32_f16 v5, v18, v36
	;; [unrolled: 1-line block ×3, first 2 shown]
	ds_write2_b32 v27, v4, v5 offset1:50
	ds_write_b32 v27, v6 offset:400
	s_waitcnt lgkmcnt(0)
	s_barrier
	buffer_gl0_inv
	s_and_saveexec_b32 s1, s0
	s_cbranch_execz .LBB0_13
; %bb.12:
	v_add_nc_u32_e32 v4, 0x400, v22
	ds_read2_b32 v[17:18], v22 offset1:150
	ds_read_b32 v11, v22 offset:2400
	ds_read2_b32 v[19:20], v4 offset0:44 offset1:194
	s_waitcnt lgkmcnt(2)
	v_lshrrev_b32_e32 v32, 16, v17
	v_lshrrev_b32_e32 v36, 16, v18
	s_waitcnt lgkmcnt(1)
	v_lshrrev_b32_e32 v21, 16, v11
	s_waitcnt lgkmcnt(0)
	v_lshrrev_b32_e32 v35, 16, v19
	v_lshrrev_b32_e32 v33, 16, v20
	v_mov_b32_e32 v34, v20
.LBB0_13:
	s_or_b32 exec_lo, exec_lo, s1
	v_add_co_u32 v4, s1, 0xfffffda8, v22
	v_add_co_ci_u32_e64 v5, null, 0, -1, s1
	v_cndmask_b32_e64 v4, v4, v22, s0
	v_cndmask_b32_e64 v5, v5, 0, s0
	v_lshlrev_b64 v[4:5], 2, v[4:5]
	v_add_co_u32 v4, s1, s2, v4
	v_add_co_ci_u32_e64 v5, s1, s3, v5, s1
	global_load_dwordx4 v[4:7], v[4:5], off offset:560
	s_waitcnt vmcnt(0)
	v_mul_f16_sdwa v20, v36, v4 dst_sel:DWORD dst_unused:UNUSED_PAD src0_sel:DWORD src1_sel:WORD_1
	v_mul_f16_sdwa v37, v18, v4 dst_sel:DWORD dst_unused:UNUSED_PAD src0_sel:DWORD src1_sel:WORD_1
	;; [unrolled: 1-line block ×8, first 2 shown]
	v_fma_f16 v18, v18, v4, -v20
	v_fmac_f16_e32 v37, v36, v4
	v_fma_f16 v19, v19, v5, -v38
	v_fmac_f16_e32 v39, v35, v5
	;; [unrolled: 2-line block ×3, first 2 shown]
	v_fmac_f16_e32 v41, v33, v6
	v_fma_f16 v21, v11, v7, -v42
	v_add_f16_e32 v11, v17, v18
	v_add_f16_e32 v33, v19, v20
	v_sub_f16_e32 v34, v18, v19
	v_add_f16_e32 v46, v39, v41
	v_sub_f16_e32 v35, v21, v20
	v_add_f16_e32 v36, v18, v21
	v_add_f16_e32 v50, v37, v43
	v_sub_f16_e32 v38, v37, v43
	v_sub_f16_e32 v40, v39, v41
	;; [unrolled: 1-line block ×3, first 2 shown]
	v_add_f16_e32 v45, v32, v37
	v_sub_f16_e32 v47, v18, v21
	v_sub_f16_e32 v48, v19, v20
	;; [unrolled: 1-line block ×4, first 2 shown]
	v_add_f16_e32 v19, v11, v19
	v_fma_f16 v11, -0.5, v33, v17
	v_add_f16_e32 v52, v34, v35
	v_fmac_f16_e32 v17, -0.5, v36
	v_fma_f16 v35, -0.5, v46, v32
	v_fmac_f16_e32 v32, -0.5, v50
	v_sub_f16_e32 v44, v20, v21
	v_sub_f16_e32 v37, v39, v37
	;; [unrolled: 1-line block ×3, first 2 shown]
	v_add_f16_e32 v33, v45, v39
	v_add_f16_e32 v39, v18, v49
	;; [unrolled: 1-line block ×3, first 2 shown]
	v_fmamk_f16 v19, v38, 0x3b9c, v11
	v_fmac_f16_e32 v11, 0xbb9c, v38
	v_fmamk_f16 v20, v40, 0xbb9c, v17
	v_fmac_f16_e32 v17, 0x3b9c, v40
	;; [unrolled: 2-line block ×4, first 2 shown]
	v_add_f16_e32 v42, v42, v44
	v_add_f16_e32 v37, v37, v51
	v_add_f16_e32 v33, v33, v41
	v_fmac_f16_e32 v19, 0x38b4, v40
	v_fmac_f16_e32 v11, 0xb8b4, v40
	;; [unrolled: 1-line block ×8, first 2 shown]
	v_add_f16_e32 v18, v18, v21
	v_add_f16_e32 v33, v33, v43
	v_fmac_f16_e32 v19, 0x34f2, v52
	v_fmac_f16_e32 v11, 0x34f2, v52
	v_fmac_f16_e32 v20, 0x34f2, v42
	v_fmac_f16_e32 v17, 0x34f2, v42
	v_fmac_f16_e32 v34, 0x34f2, v39
	v_fmac_f16_e32 v35, 0x34f2, v39
	v_fmac_f16_e32 v36, 0x34f2, v37
	v_fmac_f16_e32 v32, 0x34f2, v37
	s_and_saveexec_b32 s1, s0
	s_cbranch_execz .LBB0_15
; %bb.14:
	v_perm_b32 v21, v33, v18, 0x5040100
	v_perm_b32 v37, v34, v19, 0x5040100
	;; [unrolled: 1-line block ×4, first 2 shown]
	v_add_nc_u32_e32 v40, 0x400, v22
	v_perm_b32 v41, v35, v11, 0x5040100
	ds_write2_b32 v22, v21, v37 offset1:150
	ds_write2_b32 v40, v38, v39 offset0:44 offset1:194
	ds_write_b32 v22, v41 offset:2400
.LBB0_15:
	s_or_b32 exec_lo, exec_lo, s1
	s_waitcnt lgkmcnt(0)
	s_barrier
	buffer_gl0_inv
	s_and_saveexec_b32 s2, vcc_lo
	s_cbranch_execz .LBB0_17
; %bb.16:
	v_add_co_u32 v21, s1, s10, v22
	v_add_co_ci_u32_e64 v40, null, s11, 0, s1
	v_add_nc_u32_e32 v54, 0x200, v22
	v_add_co_u32 v37, s1, 0x800, v21
	v_add_co_ci_u32_e64 v38, s1, 0, v40, s1
	v_add_nc_u32_e32 v55, 0x400, v22
	v_add_nc_u32_e32 v56, 0x800, v22
	global_load_dword v41, v[37:38], off offset:952
	v_add_co_u32 v37, s1, 0x1000, v21
	v_add_co_ci_u32_e64 v38, s1, 0, v40, s1
	v_add_co_u32 v39, s1, 0xbb8, v21
	v_add_co_ci_u32_e64 v40, s1, 0, v40, s1
	s_clause 0x8
	global_load_dword v45, v[37:38], off offset:1604
	global_load_dword v21, v[39:40], off offset:300
	;; [unrolled: 1-line block ×9, first 2 shown]
	ds_read_b32 v37, v22
	ds_read_b32 v53, v22 offset:2700
	s_waitcnt lgkmcnt(1)
	v_lshrrev_b32_e32 v38, 16, v37
	s_waitcnt lgkmcnt(0)
	v_lshrrev_b32_e32 v57, 16, v53
	s_waitcnt vmcnt(9)
	v_mul_f16_sdwa v39, v38, v41 dst_sel:DWORD dst_unused:UNUSED_PAD src0_sel:DWORD src1_sel:WORD_1
	v_mul_f16_sdwa v40, v37, v41 dst_sel:DWORD dst_unused:UNUSED_PAD src0_sel:DWORD src1_sel:WORD_1
	v_fma_f16 v37, v37, v41, -v39
	v_fmac_f16_e32 v40, v38, v41
	s_waitcnt vmcnt(8)
	v_mul_f16_sdwa v58, v57, v45 dst_sel:DWORD dst_unused:UNUSED_PAD src0_sel:DWORD src1_sel:WORD_1
	v_mul_f16_sdwa v59, v53, v45 dst_sel:DWORD dst_unused:UNUSED_PAD src0_sel:DWORD src1_sel:WORD_1
	v_pack_b32_f16 v37, v37, v40
	v_fma_f16 v53, v53, v45, -v58
	v_fmac_f16_e32 v59, v57, v45
	ds_write_b32 v22, v37
	ds_read2_b32 v[37:38], v22 offset0:75 offset1:150
	ds_read2_b32 v[39:40], v54 offset0:97 offset1:172
	;; [unrolled: 1-line block ×4, first 2 shown]
	s_waitcnt lgkmcnt(3)
	v_lshrrev_b32_e32 v45, 16, v37
	s_waitcnt vmcnt(7)
	v_mul_f16_sdwa v57, v37, v21 dst_sel:DWORD dst_unused:UNUSED_PAD src0_sel:DWORD src1_sel:WORD_1
	v_lshrrev_b32_e32 v58, 16, v38
	s_waitcnt vmcnt(6)
	v_mul_f16_sdwa v60, v38, v46 dst_sel:DWORD dst_unused:UNUSED_PAD src0_sel:DWORD src1_sel:WORD_1
	s_waitcnt lgkmcnt(2)
	v_lshrrev_b32_e32 v61, 16, v39
	s_waitcnt vmcnt(5)
	v_mul_f16_sdwa v62, v39, v47 dst_sel:DWORD dst_unused:UNUSED_PAD src0_sel:DWORD src1_sel:WORD_1
	v_lshrrev_b32_e32 v63, 16, v40
	s_waitcnt vmcnt(4)
	v_mul_f16_sdwa v64, v40, v48 dst_sel:DWORD dst_unused:UNUSED_PAD src0_sel:DWORD src1_sel:WORD_1
	;; [unrolled: 7-line block ×3, first 2 shown]
	s_waitcnt lgkmcnt(0)
	v_lshrrev_b32_e32 v69, 16, v43
	s_waitcnt vmcnt(1)
	v_mul_f16_sdwa v70, v43, v51 dst_sel:DWORD dst_unused:UNUSED_PAD src0_sel:DWORD src1_sel:WORD_1
	v_lshrrev_b32_e32 v71, 16, v44
	v_mul_f16_sdwa v73, v45, v21 dst_sel:DWORD dst_unused:UNUSED_PAD src0_sel:DWORD src1_sel:WORD_1
	v_fmac_f16_e32 v57, v45, v21
	v_mul_f16_sdwa v45, v58, v46 dst_sel:DWORD dst_unused:UNUSED_PAD src0_sel:DWORD src1_sel:WORD_1
	v_fmac_f16_e32 v60, v58, v46
	;; [unrolled: 2-line block ×5, first 2 shown]
	v_mul_f16_sdwa v65, v67, v50 dst_sel:DWORD dst_unused:UNUSED_PAD src0_sel:DWORD src1_sel:WORD_1
	s_waitcnt vmcnt(0)
	v_mul_f16_sdwa v72, v44, v52 dst_sel:DWORD dst_unused:UNUSED_PAD src0_sel:DWORD src1_sel:WORD_1
	v_fmac_f16_e32 v68, v67, v50
	v_mul_f16_sdwa v67, v69, v51 dst_sel:DWORD dst_unused:UNUSED_PAD src0_sel:DWORD src1_sel:WORD_1
	v_fmac_f16_e32 v70, v69, v51
	v_mul_f16_sdwa v69, v71, v52 dst_sel:DWORD dst_unused:UNUSED_PAD src0_sel:DWORD src1_sel:WORD_1
	v_fma_f16 v21, v37, v21, -v73
	v_fma_f16 v37, v38, v46, -v45
	;; [unrolled: 1-line block ×6, first 2 shown]
	v_fmac_f16_e32 v72, v71, v52
	v_fma_f16 v42, v43, v51, -v67
	v_fma_f16 v43, v44, v52, -v69
	v_pack_b32_f16 v21, v21, v57
	v_pack_b32_f16 v37, v37, v60
	;; [unrolled: 1-line block ×9, first 2 shown]
	ds_write2_b32 v22, v21, v37 offset0:75 offset1:150
	ds_write2_b32 v54, v38, v39 offset0:97 offset1:172
	ds_write2_b32 v55, v40, v41 offset0:119 offset1:194
	ds_write2_b32 v56, v42, v43 offset0:13 offset1:88
	ds_write_b32 v22, v44 offset:2700
.LBB0_17:
	s_or_b32 exec_lo, exec_lo, s2
	s_waitcnt lgkmcnt(0)
	s_barrier
	buffer_gl0_inv
	s_and_saveexec_b32 s1, vcc_lo
	s_cbranch_execz .LBB0_19
; %bb.18:
	v_add_nc_u32_e32 v11, 0x400, v22
	v_add_nc_u32_e32 v13, 0x600, v22
	;; [unrolled: 1-line block ×3, first 2 shown]
	ds_read2_b32 v[18:19], v22 offset1:75
	ds_read2_b32 v[20:21], v22 offset0:150 offset1:225
	ds_read2_b32 v[11:12], v11 offset0:44 offset1:119
	;; [unrolled: 1-line block ×4, first 2 shown]
	s_waitcnt lgkmcnt(4)
	v_lshrrev_b32_e32 v33, 16, v18
	v_lshrrev_b32_e32 v34, 16, v19
	s_waitcnt lgkmcnt(3)
	v_lshrrev_b32_e32 v36, 16, v20
	v_lshrrev_b32_e32 v32, 16, v21
	s_waitcnt lgkmcnt(2)
	v_lshrrev_b32_e32 v35, 16, v11
	s_waitcnt lgkmcnt(1)
	v_lshrrev_b32_e32 v30, 16, v13
	v_lshrrev_b32_e32 v29, 16, v14
	s_waitcnt lgkmcnt(0)
	v_lshrrev_b32_e32 v31, 16, v15
	v_lshrrev_b32_e32 v28, 16, v16
	v_mov_b32_e32 v17, v21
.LBB0_19:
	s_or_b32 exec_lo, exec_lo, s1
	v_add_f16_e32 v37, v18, v20
	v_add_f16_e32 v21, v11, v13
	v_sub_f16_e32 v38, v20, v11
	v_sub_f16_e32 v39, v15, v13
	v_add_f16_e32 v42, v20, v15
	v_add_f16_e32 v43, v37, v11
	v_sub_f16_e32 v41, v36, v31
	v_sub_f16_e32 v40, v35, v30
	v_fma_f16 v21, -0.5, v21, v18
	v_add_f16_e32 v45, v38, v39
	v_fmac_f16_e32 v18, -0.5, v42
	v_add_f16_e32 v38, v43, v13
	v_add_f16_e32 v43, v33, v36
	v_sub_f16_e32 v44, v11, v20
	v_fmamk_f16 v37, v41, 0xbb9c, v21
	v_fmac_f16_e32 v21, 0x3b9c, v41
	v_sub_f16_e32 v42, v13, v15
	v_fmamk_f16 v39, v40, 0x3b9c, v18
	v_add_f16_e32 v46, v35, v30
	v_fmac_f16_e32 v18, 0xbb9c, v40
	v_add_f16_e32 v43, v43, v35
	v_fmac_f16_e32 v37, 0xb8b4, v40
	v_fmac_f16_e32 v21, 0x38b4, v40
	;; [unrolled: 1-line block ×3, first 2 shown]
	v_add_f16_e32 v42, v44, v42
	v_fma_f16 v40, -0.5, v46, v33
	v_sub_f16_e32 v44, v20, v15
	v_fmac_f16_e32 v18, 0x38b4, v41
	v_add_f16_e32 v20, v43, v30
	v_add_f16_e32 v41, v36, v31
	v_add_f16_e32 v38, v38, v15
	v_fmamk_f16 v15, v44, 0x3b9c, v40
	v_sub_f16_e32 v11, v11, v13
	v_sub_f16_e32 v13, v36, v35
	;; [unrolled: 1-line block ×3, first 2 shown]
	v_fmac_f16_e32 v33, -0.5, v41
	v_add_f16_e32 v20, v20, v31
	v_fmac_f16_e32 v40, 0xbb9c, v44
	v_sub_f16_e32 v30, v30, v31
	v_add_f16_e32 v31, v19, v17
	v_fmac_f16_e32 v15, 0x38b4, v11
	v_add_f16_e32 v13, v13, v43
	v_fmamk_f16 v41, v11, 0xbb9c, v33
	v_sub_f16_e32 v35, v35, v36
	v_fmac_f16_e32 v40, 0xb8b4, v11
	v_fmac_f16_e32 v33, 0x3b9c, v11
	v_add_f16_e32 v11, v31, v12
	v_add_f16_e32 v31, v12, v14
	v_fmac_f16_e32 v15, 0x34f2, v13
	v_fmac_f16_e32 v41, 0x38b4, v44
	v_add_f16_e32 v30, v35, v30
	v_fmac_f16_e32 v40, 0x34f2, v13
	v_fmac_f16_e32 v33, 0xb8b4, v44
	v_add_f16_e32 v11, v11, v14
	v_fma_f16 v31, -0.5, v31, v19
	v_add_f16_e32 v13, v17, v16
	v_sub_f16_e32 v35, v32, v28
	v_fmac_f16_e32 v41, 0x34f2, v30
	v_fmac_f16_e32 v33, 0x34f2, v30
	v_add_f16_e32 v30, v11, v16
	v_sub_f16_sdwa v11, v12, v29 dst_sel:DWORD dst_unused:UNUSED_PAD src0_sel:WORD_1 src1_sel:DWORD
	v_fmac_f16_e32 v19, -0.5, v13
	v_fmamk_f16 v44, v35, 0xbb9c, v31
	v_sub_f16_e32 v13, v17, v12
	v_sub_f16_e32 v36, v16, v14
	v_fmac_f16_e32 v31, 0x3b9c, v35
	v_fmamk_f16 v48, v11, 0x3b9c, v19
	v_fmac_f16_e32 v44, 0xb8b4, v11
	v_fmac_f16_e32 v19, 0xbb9c, v11
	v_add_f16_e32 v13, v13, v36
	v_fmac_f16_e32 v31, 0x38b4, v11
	v_add_f16_sdwa v11, v12, v29 dst_sel:DWORD dst_unused:UNUSED_PAD src0_sel:WORD_1 src1_sel:DWORD
	v_fmac_f16_e32 v39, 0x34f2, v42
	v_fmac_f16_e32 v18, 0x34f2, v42
	;; [unrolled: 1-line block ×4, first 2 shown]
	v_add_f16_e32 v13, v32, v28
	v_fma_f16 v47, -0.5, v11, v34
	v_sub_f16_e32 v11, v17, v16
	v_sub_f16_e32 v42, v12, v17
	;; [unrolled: 1-line block ×3, first 2 shown]
	v_add_f16_e32 v16, v34, v32
	v_sub_f16_e32 v14, v12, v14
	v_fmac_f16_e32 v34, -0.5, v13
	v_fmamk_f16 v49, v11, 0x3b9c, v47
	v_sub_f16_sdwa v13, v32, v12 dst_sel:DWORD dst_unused:UNUSED_PAD src0_sel:DWORD src1_sel:WORD_1
	v_sub_f16_e32 v17, v28, v29
	v_fmac_f16_e32 v37, 0x34f2, v45
	v_fmac_f16_e32 v21, 0x34f2, v45
	;; [unrolled: 1-line block ×4, first 2 shown]
	v_fmamk_f16 v45, v14, 0xbb9c, v34
	v_sub_f16_sdwa v32, v12, v32 dst_sel:DWORD dst_unused:UNUSED_PAD src0_sel:WORD_1 src1_sel:DWORD
	v_sub_f16_e32 v35, v29, v28
	v_fmac_f16_e32 v34, 0x3b9c, v14
	v_fmac_f16_e32 v49, 0x38b4, v14
	v_add_f16_e32 v13, v13, v17
	v_fmac_f16_e32 v47, 0xbb9c, v11
	v_fmac_f16_e32 v45, 0x38b4, v11
	v_add_f16_e32 v17, v32, v35
	v_fmac_f16_e32 v34, 0xb8b4, v11
	v_fmac_f16_e32 v49, 0x34f2, v13
	;; [unrolled: 1-line block ×3, first 2 shown]
	v_add_f16_e32 v36, v42, v43
	v_add_f16_sdwa v11, v16, v12 dst_sel:DWORD dst_unused:UNUSED_PAD src0_sel:DWORD src1_sel:WORD_1
	v_fmac_f16_e32 v45, 0x34f2, v17
	v_fmac_f16_e32 v34, 0x34f2, v17
	v_mul_f16_e32 v17, 0xb8b4, v49
	v_fmac_f16_e32 v47, 0x34f2, v13
	v_fmac_f16_e32 v48, 0x34f2, v36
	;; [unrolled: 1-line block ×3, first 2 shown]
	v_add_f16_e32 v11, v11, v29
	v_mul_f16_e32 v35, 0xbb9c, v45
	v_mul_f16_e32 v36, 0xbb9c, v34
	v_fmac_f16_e32 v17, 0x3a79, v44
	v_mul_f16_e32 v43, 0xb8b4, v47
	v_mul_f16_e32 v44, 0x38b4, v44
	;; [unrolled: 1-line block ×5, first 2 shown]
	v_add_f16_e32 v42, v11, v28
	v_fmac_f16_e32 v35, 0x34f2, v48
	v_fmac_f16_e32 v36, 0xb4f2, v19
	v_fmac_f16_e32 v43, 0xba79, v31
	v_fmac_f16_e32 v44, 0x3a79, v49
	v_fmac_f16_e32 v45, 0x3b9c, v48
	v_fmac_f16_e32 v46, 0x3b9c, v19
	v_fmac_f16_e32 v47, 0x38b4, v31
	v_add_f16_e32 v11, v38, v30
	v_add_f16_e32 v12, v37, v17
	;; [unrolled: 1-line block ×10, first 2 shown]
	s_barrier
	buffer_gl0_inv
	s_and_saveexec_b32 s1, vcc_lo
	s_cbranch_execz .LBB0_21
; %bb.20:
	v_mov_b32_e32 v19, 2
	v_sub_f16_e32 v41, v41, v45
	v_sub_f16_e32 v15, v15, v44
	;; [unrolled: 1-line block ×10, first 2 shown]
	v_lshlrev_b32_sdwa v26, v19, v26 dst_sel:DWORD dst_unused:UNUSED_PAD src0_sel:DWORD src1_sel:WORD_0
	v_perm_b32 v18, v29, v14, 0x5040100
	v_perm_b32 v17, v31, v13, 0x5040100
	;; [unrolled: 1-line block ×5, first 2 shown]
	v_pack_b32_f16 v38, v36, v41
	v_pack_b32_f16 v37, v37, v15
	;; [unrolled: 1-line block ×5, first 2 shown]
	ds_write2_b64 v26, v[19:20], v[17:18] offset1:1
	ds_write2_b64 v26, v[35:36], v[37:38] offset0:2 offset1:3
	ds_write_b64 v26, v[39:40] offset:32
.LBB0_21:
	s_or_b32 exec_lo, exec_lo, s1
	s_waitcnt lgkmcnt(0)
	s_barrier
	buffer_gl0_inv
	s_and_saveexec_b32 s1, s0
	s_cbranch_execz .LBB0_23
; %bb.22:
	v_add_nc_u32_e32 v13, 0x400, v22
	ds_read2_b32 v[11:12], v22 offset1:150
	ds_read2_b32 v[13:14], v13 offset0:44 offset1:194
	ds_read_b32 v28, v22 offset:2400
	s_waitcnt lgkmcnt(2)
	v_lshrrev_b32_e32 v16, 16, v11
	v_lshrrev_b32_e32 v34, 16, v12
	s_waitcnt lgkmcnt(1)
	v_lshrrev_b32_e32 v31, 16, v13
	v_lshrrev_b32_e32 v29, 16, v14
	s_waitcnt lgkmcnt(0)
	v_lshrrev_b32_e32 v32, 16, v28
.LBB0_23:
	s_or_b32 exec_lo, exec_lo, s1
	v_mul_f16_sdwa v18, v1, v31 dst_sel:DWORD dst_unused:UNUSED_PAD src0_sel:WORD_1 src1_sel:DWORD
	v_mul_f16_sdwa v17, v2, v29 dst_sel:DWORD dst_unused:UNUSED_PAD src0_sel:WORD_1 src1_sel:DWORD
	;; [unrolled: 1-line block ×5, first 2 shown]
	v_fmac_f16_e32 v18, v1, v13
	v_fmac_f16_e32 v17, v2, v14
	v_fma_f16 v21, v1, v31, -v20
	v_mul_f16_sdwa v1, v3, v32 dst_sel:DWORD dst_unused:UNUSED_PAD src0_sel:WORD_1 src1_sel:DWORD
	v_fma_f16 v26, v0, v34, -v15
	v_mul_f16_sdwa v13, v3, v28 dst_sel:DWORD dst_unused:UNUSED_PAD src0_sel:WORD_1 src1_sel:DWORD
	v_mul_f16_sdwa v14, v2, v14 dst_sel:DWORD dst_unused:UNUSED_PAD src0_sel:WORD_1 src1_sel:DWORD
	v_add_f16_e32 v15, v18, v17
	v_fmac_f16_e32 v19, v0, v12
	v_fmac_f16_e32 v1, v3, v28
	v_fma_f16 v20, v3, v32, -v13
	v_fma_f16 v2, v2, v29, -v14
	v_fma_f16 v0, -0.5, v15, v11
	v_sub_f16_e32 v13, v19, v18
	v_sub_f16_e32 v14, v1, v17
	;; [unrolled: 1-line block ×4, first 2 shown]
	v_add_f16_e32 v3, v19, v1
	v_sub_f16_e32 v28, v26, v20
	v_add_f16_e32 v31, v13, v14
	v_add_f16_e32 v14, v21, v2
	;; [unrolled: 1-line block ×4, first 2 shown]
	v_sub_f16_e32 v30, v21, v2
	v_fma_f16 v3, -0.5, v3, v11
	v_fma_f16 v32, -0.5, v14, v16
	v_sub_f16_e32 v34, v19, v1
	v_sub_f16_e32 v33, v18, v17
	v_fma_f16 v35, -0.5, v15, v16
	v_fmamk_f16 v12, v28, 0x3b9c, v0
	v_fmamk_f16 v13, v30, 0xbb9c, v3
	v_sub_f16_e32 v36, v26, v21
	v_sub_f16_e32 v37, v20, v2
	v_fmamk_f16 v14, v34, 0xbb9c, v32
	v_sub_f16_e32 v38, v21, v26
	v_sub_f16_e32 v39, v2, v20
	v_fmamk_f16 v15, v33, 0x3b9c, v35
	v_fmac_f16_e32 v12, 0x38b4, v30
	v_fmac_f16_e32 v13, 0x38b4, v28
	v_add_f16_e32 v36, v36, v37
	v_fmac_f16_e32 v14, 0xb8b4, v33
	v_add_f16_e32 v37, v38, v39
	v_fmac_f16_e32 v15, 0xb8b4, v34
	v_fmac_f16_e32 v12, 0x34f2, v31
	;; [unrolled: 1-line block ×5, first 2 shown]
	s_barrier
	buffer_gl0_inv
	s_and_saveexec_b32 s1, s0
	s_cbranch_execz .LBB0_25
; %bb.24:
	v_mul_f16_e32 v38, 0x3b9c, v28
	v_mul_f16_e32 v41, 0x3b9c, v34
	v_add_f16_e32 v16, v16, v26
	v_add_f16_e32 v11, v11, v19
	v_mul_f16_e32 v39, 0x38b4, v30
	v_mul_f16_e32 v40, 0x3b9c, v33
	;; [unrolled: 1-line block ×4, first 2 shown]
	v_add_f16_e32 v32, v32, v41
	v_add_f16_e32 v16, v16, v21
	;; [unrolled: 1-line block ×3, first 2 shown]
	v_sub_f16_e32 v0, v0, v38
	v_mul_f16_e32 v28, 0x38b4, v28
	v_mul_f16_e32 v34, 0x38b4, v34
	v_sub_f16_e32 v35, v35, v40
	v_add_f16_e32 v3, v30, v3
	v_mul_f16_e32 v31, 0x34f2, v31
	v_mul_f16_e32 v36, 0x34f2, v36
	v_add_f16_e32 v26, v33, v32
	v_add_f16_e32 v2, v16, v2
	v_mov_b32_e32 v16, 50
	v_add_f16_e32 v11, v11, v17
	v_sub_f16_e32 v0, v0, v39
	v_mul_f16_e32 v37, 0x34f2, v37
	v_add_f16_e32 v34, v34, v35
	v_mul_f16_e32 v19, 0x34f2, v29
	v_sub_f16_e32 v3, v3, v28
	v_add_f16_e32 v21, v36, v26
	v_add_f16_e32 v2, v2, v20
	v_mul_u32_u24_sdwa v16, v25, v16 dst_sel:DWORD dst_unused:UNUSED_PAD src0_sel:WORD_0 src1_sel:DWORD
	v_add_f16_e32 v1, v11, v1
	v_add_f16_e32 v0, v31, v0
	;; [unrolled: 1-line block ×4, first 2 shown]
	v_add_lshl_u32 v11, v16, v24, 2
	v_pack_b32_f16 v1, v1, v2
	v_pack_b32_f16 v0, v0, v21
	v_perm_b32 v16, v14, v12, 0x5040100
	v_pack_b32_f16 v2, v3, v29
	v_perm_b32 v3, v15, v13, 0x5040100
	ds_write2_b32 v11, v1, v0 offset1:10
	ds_write2_b32 v11, v2, v3 offset0:20 offset1:30
	ds_write_b32 v11, v16 offset:160
.LBB0_25:
	s_or_b32 exec_lo, exec_lo, s1
	s_waitcnt lgkmcnt(0)
	s_barrier
	buffer_gl0_inv
	ds_read2_b32 v[2:3], v22 offset1:250
	ds_read_b32 v0, v22 offset:2000
	s_waitcnt lgkmcnt(0)
	s_barrier
	buffer_gl0_inv
	v_lshrrev_b32_e32 v1, 16, v3
	v_lshrrev_b32_e32 v11, 16, v0
	v_mul_f16_sdwa v16, v9, v3 dst_sel:DWORD dst_unused:UNUSED_PAD src0_sel:WORD_1 src1_sel:DWORD
	v_mul_f16_sdwa v17, v10, v0 dst_sel:DWORD dst_unused:UNUSED_PAD src0_sel:WORD_1 src1_sel:DWORD
	;; [unrolled: 1-line block ×4, first 2 shown]
	v_fma_f16 v1, v9, v1, -v16
	v_fma_f16 v16, v10, v11, -v17
	v_lshrrev_b32_e32 v11, 16, v2
	v_fmac_f16_e32 v18, v9, v3
	v_fmac_f16_e32 v19, v10, v0
	v_add_f16_e32 v0, v1, v16
	v_add_f16_e32 v3, v11, v1
	v_add_f16_e32 v10, v2, v18
	v_add_f16_e32 v9, v18, v19
	v_sub_f16_e32 v17, v18, v19
	v_fmac_f16_e32 v11, -0.5, v0
	v_sub_f16_e32 v18, v1, v16
	v_add_f16_e32 v0, v10, v19
	v_fmac_f16_e32 v2, -0.5, v9
	v_add_f16_e32 v9, v3, v16
	v_fmamk_f16 v10, v17, 0x3aee, v11
	v_fmac_f16_e32 v11, 0xbaee, v17
	v_fmamk_f16 v1, v18, 0xbaee, v2
	v_fmac_f16_e32 v2, 0x3aee, v18
	v_pack_b32_f16 v3, v0, v9
	v_pack_b32_f16 v16, v1, v10
	;; [unrolled: 1-line block ×3, first 2 shown]
	ds_write2_b32 v27, v3, v16 offset1:50
	ds_write_b32 v27, v17 offset:400
	s_waitcnt lgkmcnt(0)
	s_barrier
	buffer_gl0_inv
	s_and_saveexec_b32 s1, s0
	s_cbranch_execz .LBB0_27
; %bb.26:
	v_add_nc_u32_e32 v2, 0x400, v22
	ds_read2_b32 v[0:1], v22 offset1:150
	ds_read_b32 v12, v22 offset:2400
	ds_read2_b32 v[2:3], v2 offset0:44 offset1:194
	s_waitcnt lgkmcnt(2)
	v_lshrrev_b32_e32 v9, 16, v0
	v_lshrrev_b32_e32 v10, 16, v1
	s_waitcnt lgkmcnt(1)
	v_lshrrev_b32_e32 v14, 16, v12
	s_waitcnt lgkmcnt(0)
	v_lshrrev_b32_e32 v11, 16, v2
	v_lshrrev_b32_e32 v15, 16, v3
	v_mov_b32_e32 v13, v3
.LBB0_27:
	s_or_b32 exec_lo, exec_lo, s1
	s_and_saveexec_b32 s1, s0
	s_cbranch_execz .LBB0_29
; %bb.28:
	v_mul_f16_sdwa v3, v4, v1 dst_sel:DWORD dst_unused:UNUSED_PAD src0_sel:WORD_1 src1_sel:DWORD
	v_mul_f16_sdwa v16, v7, v12 dst_sel:DWORD dst_unused:UNUSED_PAD src0_sel:WORD_1 src1_sel:DWORD
	;; [unrolled: 1-line block ×5, first 2 shown]
	v_fma_f16 v3, v4, v10, -v3
	v_fma_f16 v16, v7, v14, -v16
	v_fma_f16 v11, v5, v11, -v17
	v_mul_f16_sdwa v17, v6, v13 dst_sel:DWORD dst_unused:UNUSED_PAD src0_sel:WORD_1 src1_sel:DWORD
	v_fmac_f16_e32 v18, v5, v2
	v_fmac_f16_e32 v19, v6, v13
	v_add_f16_e32 v2, v3, v16
	v_mul_f16_sdwa v5, v4, v10 dst_sel:DWORD dst_unused:UNUSED_PAD src0_sel:WORD_1 src1_sel:DWORD
	v_mul_f16_sdwa v10, v7, v14 dst_sel:DWORD dst_unused:UNUSED_PAD src0_sel:WORD_1 src1_sel:DWORD
	v_fma_f16 v6, v6, v15, -v17
	v_sub_f16_e32 v13, v18, v19
	v_fma_f16 v2, -0.5, v2, v9
	v_fmac_f16_e32 v5, v4, v1
	v_fmac_f16_e32 v10, v7, v12
	v_sub_f16_e32 v1, v11, v3
	v_sub_f16_e32 v4, v6, v16
	v_add_f16_e32 v14, v11, v6
	v_fmamk_f16 v7, v13, 0x3b9c, v2
	v_sub_f16_e32 v12, v5, v10
	v_fmac_f16_e32 v2, 0xbb9c, v13
	v_add_f16_e32 v1, v1, v4
	v_fma_f16 v4, -0.5, v14, v9
	v_add_f16_e32 v9, v9, v3
	v_fmac_f16_e32 v7, 0xb8b4, v12
	v_fmac_f16_e32 v2, 0x38b4, v12
	v_sub_f16_e32 v14, v3, v11
	v_fmamk_f16 v17, v12, 0xbb9c, v4
	v_fmac_f16_e32 v4, 0x3b9c, v12
	v_sub_f16_e32 v15, v16, v6
	v_add_f16_e32 v9, v9, v11
	v_fmac_f16_e32 v7, 0x34f2, v1
	v_fmac_f16_e32 v17, 0xb8b4, v13
	;; [unrolled: 1-line block ×4, first 2 shown]
	v_add_f16_e32 v1, v5, v10
	v_add_f16_e32 v13, v18, v19
	;; [unrolled: 1-line block ×4, first 2 shown]
	v_sub_f16_e32 v3, v3, v16
	v_fma_f16 v1, -0.5, v1, v0
	v_fma_f16 v13, -0.5, v13, v0
	v_add_f16_e32 v0, v0, v5
	v_sub_f16_e32 v6, v11, v6
	v_fmac_f16_e32 v17, 0x34f2, v12
	v_fmac_f16_e32 v4, 0x34f2, v12
	v_add_f16_e32 v9, v9, v16
	v_sub_f16_e32 v12, v18, v5
	v_sub_f16_e32 v5, v5, v18
	;; [unrolled: 1-line block ×3, first 2 shown]
	v_fmamk_f16 v16, v3, 0x3b9c, v13
	v_add_f16_e32 v0, v0, v18
	v_fmac_f16_e32 v13, 0xbb9c, v3
	v_sub_f16_e32 v11, v19, v10
	v_fmamk_f16 v14, v6, 0xbb9c, v1
	v_fmac_f16_e32 v1, 0x3b9c, v6
	v_add_f16_e32 v5, v5, v15
	v_add_f16_e32 v0, v0, v19
	v_fmac_f16_e32 v13, 0xb8b4, v6
	v_add_f16_e32 v11, v12, v11
	v_fmac_f16_e32 v1, 0xb8b4, v3
	v_fmac_f16_e32 v14, 0x38b4, v3
	;; [unrolled: 1-line block ×3, first 2 shown]
	v_add_f16_e32 v0, v0, v10
	v_fmac_f16_e32 v13, 0x34f2, v5
	v_fmac_f16_e32 v1, 0x34f2, v11
	;; [unrolled: 1-line block ×4, first 2 shown]
	v_pack_b32_f16 v0, v0, v9
	v_pack_b32_f16 v3, v13, v4
	;; [unrolled: 1-line block ×4, first 2 shown]
	v_add_nc_u32_e32 v4, 0x400, v22
	v_pack_b32_f16 v5, v16, v17
	ds_write2_b32 v22, v0, v3 offset1:150
	ds_write2_b32 v4, v1, v2 offset0:44 offset1:194
	ds_write_b32 v22, v5 offset:2400
.LBB0_29:
	s_or_b32 exec_lo, exec_lo, s1
	s_waitcnt lgkmcnt(0)
	s_barrier
	buffer_gl0_inv
	s_and_b32 exec_lo, exec_lo, vcc_lo
	s_cbranch_execz .LBB0_31
; %bb.30:
	s_clause 0x5
	global_load_dword v0, v22, s[10:11]
	global_load_dword v1, v22, s[10:11] offset:300
	global_load_dword v5, v22, s[10:11] offset:600
	;; [unrolled: 1-line block ×5, first 2 shown]
	v_mad_u64_u32 v[9:10], null, s6, v8, 0
	ds_read_b32 v26, v22
	global_load_dword v2, v22, s[10:11] offset:1800
	ds_read2_b32 v[13:14], v22 offset0:75 offset1:150
	v_add_nc_u32_e32 v6, 0x200, v22
	v_mad_u64_u32 v[11:12], null, s4, v23, 0
	v_mov_b32_e32 v4, v10
	v_add_co_u32 v19, s0, s10, v22
	v_add_co_ci_u32_e64 v20, null, s11, 0, s0
	ds_read_b32 v3, v22 offset:2700
	ds_read2_b32 v[15:16], v6 offset0:97 offset1:172
	v_add_nc_u32_e32 v24, 0x400, v22
	v_mov_b32_e32 v6, v12
	s_mov_b32 s18, 0xc3ece2a5
	s_mov_b32 s19, 0x3f55d867
	s_mul_i32 s0, s5, 0x12c
	s_mul_hi_u32 s20, s4, 0x12c
	s_mul_i32 s17, s4, 0x12c
	s_add_i32 s20, s20, s0
	s_waitcnt vmcnt(6) lgkmcnt(3)
	v_mul_f16_sdwa v28, v26, v0 dst_sel:DWORD dst_unused:UNUSED_PAD src0_sel:DWORD src1_sel:WORD_1
	s_waitcnt vmcnt(5) lgkmcnt(2)
	v_mul_f16_sdwa v30, v13, v1 dst_sel:DWORD dst_unused:UNUSED_PAD src0_sel:DWORD src1_sel:WORD_1
	s_waitcnt vmcnt(4)
	v_mad_u64_u32 v[17:18], null, s7, v8, v[4:5]
	v_add_co_u32 v18, vcc_lo, 0x800, v19
	v_add_co_ci_u32_e32 v19, vcc_lo, 0, v20, vcc_lo
	s_waitcnt vmcnt(3)
	v_mad_u64_u32 v[20:21], null, s5, v23, v[6:7]
	v_mov_b32_e32 v10, v17
	v_lshrrev_b32_e32 v17, 16, v26
	ds_read2_b32 v[23:24], v24 offset0:119 offset1:194
	s_clause 0x2
	global_load_dword v8, v[18:19], off offset:52
	global_load_dword v6, v[18:19], off offset:352
	;; [unrolled: 1-line block ×3, first 2 shown]
	v_lshrrev_b32_e32 v18, 16, v13
	v_lshrrev_b32_e32 v19, 16, v14
	v_mul_f16_sdwa v27, v17, v0 dst_sel:DWORD dst_unused:UNUSED_PAD src0_sel:DWORD src1_sel:WORD_1
	v_mov_b32_e32 v12, v20
	s_waitcnt lgkmcnt(1)
	v_lshrrev_b32_e32 v20, 16, v15
	v_mul_f16_sdwa v29, v18, v1 dst_sel:DWORD dst_unused:UNUSED_PAD src0_sel:DWORD src1_sel:WORD_1
	v_lshrrev_b32_e32 v21, 16, v16
	v_fmac_f16_e32 v27, v26, v0
	v_fma_f16 v0, v0, v17, -v28
	v_fma_f16 v17, v1, v18, -v30
	v_fmac_f16_e32 v29, v13, v1
	v_mul_f16_sdwa v31, v19, v5 dst_sel:DWORD dst_unused:UNUSED_PAD src0_sel:DWORD src1_sel:WORD_1
	v_cvt_f32_f16_e32 v1, v27
	v_mul_f16_sdwa v33, v20, v7 dst_sel:DWORD dst_unused:UNUSED_PAD src0_sel:DWORD src1_sel:WORD_1
	v_cvt_f32_f16_e32 v13, v0
	v_mul_f16_sdwa v32, v14, v5 dst_sel:DWORD dst_unused:UNUSED_PAD src0_sel:DWORD src1_sel:WORD_1
	v_mul_f16_sdwa v34, v15, v7 dst_sel:DWORD dst_unused:UNUSED_PAD src0_sel:DWORD src1_sel:WORD_1
	v_cvt_f64_f32_e32 v[0:1], v1
	s_waitcnt vmcnt(5)
	v_mul_f16_sdwa v35, v21, v25 dst_sel:DWORD dst_unused:UNUSED_PAD src0_sel:DWORD src1_sel:WORD_1
	v_fmac_f16_e32 v31, v14, v5
	v_fmac_f16_e32 v33, v15, v7
	v_cvt_f64_f32_e32 v[13:14], v13
	v_cvt_f32_f16_e32 v15, v29
	v_mul_f16_sdwa v36, v16, v25 dst_sel:DWORD dst_unused:UNUSED_PAD src0_sel:DWORD src1_sel:WORD_1
	v_fmac_f16_e32 v35, v16, v25
	v_cvt_f32_f16_e32 v17, v17
	v_fma_f16 v5, v5, v19, -v32
	v_cvt_f64_f32_e32 v[15:16], v15
	v_fma_f16 v7, v7, v20, -v34
	v_fma_f16 v19, v25, v21, -v36
	v_cvt_f32_f16_e32 v20, v31
	v_cvt_f64_f32_e32 v[17:18], v17
	v_lshlrev_b64 v[9:10], 2, v[9:10]
	v_cvt_f32_f16_e32 v5, v5
	v_cvt_f32_f16_e32 v21, v33
	;; [unrolled: 1-line block ×3, first 2 shown]
	v_cvt_f64_f32_e32 v[19:20], v20
	v_lshlrev_b64 v[11:12], 2, v[11:12]
	s_waitcnt lgkmcnt(0)
	v_lshrrev_b32_e32 v38, 16, v23
	v_mul_f64 v[0:1], v[0:1], s[18:19]
	v_cvt_f64_f32_e32 v[25:26], v5
	v_add_co_u32 v9, vcc_lo, s8, v9
	v_mul_f64 v[13:14], v[13:14], s[18:19]
	v_add_co_ci_u32_e32 v10, vcc_lo, s9, v10, vcc_lo
	s_waitcnt vmcnt(4)
	v_mul_f16_sdwa v39, v38, v37 dst_sel:DWORD dst_unused:UNUSED_PAD src0_sel:DWORD src1_sel:WORD_1
	v_cvt_f32_f16_e32 v7, v7
	v_cvt_f64_f32_e32 v[27:28], v21
	v_add_co_u32 v9, vcc_lo, v9, v11
	v_mul_f64 v[15:16], v[15:16], s[18:19]
	v_add_co_ci_u32_e32 v10, vcc_lo, v10, v12, vcc_lo
	v_mul_f16_sdwa v40, v23, v37 dst_sel:DWORD dst_unused:UNUSED_PAD src0_sel:DWORD src1_sel:WORD_1
	v_fmac_f16_e32 v39, v23, v37
	v_cvt_f32_f16_e32 v23, v35
	v_cvt_f64_f32_e32 v[29:30], v7
	v_add_co_u32 v11, vcc_lo, v9, s17
	v_mul_f64 v[17:18], v[17:18], s[18:19]
	v_add_co_ci_u32_e32 v12, vcc_lo, s20, v10, vcc_lo
	v_cvt_f64_f32_e32 v[31:32], v23
	v_fma_f16 v5, v37, v38, -v40
	v_add_co_u32 v37, vcc_lo, v11, s17
	v_mul_f64 v[19:20], v[19:20], s[18:19]
	v_add_co_ci_u32_e32 v38, vcc_lo, s20, v12, vcc_lo
	v_and_or_b32 v0, 0x1ff, v1, v0
	v_cvt_f32_f16_e32 v35, v39
	v_cvt_f64_f32_e32 v[33:34], v33
	v_add_co_u32 v39, vcc_lo, v37, s17
	v_mul_f64 v[25:26], v[25:26], s[18:19]
	v_add_co_ci_u32_e32 v40, vcc_lo, s20, v38, vcc_lo
	v_and_or_b32 v13, 0x1ff, v14, v13
	v_cmp_ne_u32_e32 vcc_lo, 0, v0
	v_cvt_f64_f32_e32 v[35:36], v35
	v_mul_f64 v[27:28], v[27:28], s[18:19]
	v_and_or_b32 v15, 0x1ff, v16, v15
	v_mul_f64 v[29:30], v[29:30], s[18:19]
	v_cndmask_b32_e64 v0, 0, 1, vcc_lo
	v_cmp_ne_u32_e32 vcc_lo, 0, v13
	v_and_or_b32 v17, 0x1ff, v18, v17
	v_mul_f64 v[31:32], v[31:32], s[18:19]
	v_cvt_f32_f16_e32 v5, v5
	v_and_or_b32 v19, 0x1ff, v20, v19
	v_cndmask_b32_e64 v13, 0, 1, vcc_lo
	v_cmp_ne_u32_e32 vcc_lo, 0, v15
	v_bfe_u32 v7, v1, 20, 11
	v_cvt_f64_f32_e32 v[41:42], v5
	v_mul_f64 v[33:34], v[33:34], s[18:19]
	v_lshrrev_b32_e32 v5, 8, v1
	v_cndmask_b32_e64 v15, 0, 1, vcc_lo
	v_cmp_ne_u32_e32 vcc_lo, 0, v17
	v_and_or_b32 v25, 0x1ff, v26, v25
	v_lshrrev_b32_e32 v21, 8, v14
	v_bfe_u32 v23, v14, 20, 11
	v_lshrrev_b32_e32 v43, 8, v16
	v_cndmask_b32_e64 v17, 0, 1, vcc_lo
	v_cmp_ne_u32_e32 vcc_lo, 0, v19
	v_mul_f64 v[35:36], v[35:36], s[18:19]
	v_and_or_b32 v27, 0x1ff, v28, v27
	v_and_or_b32 v29, 0x1ff, v30, v29
	v_bfe_u32 v44, v16, 20, 11
	v_cndmask_b32_e64 v19, 0, 1, vcc_lo
	v_cmp_ne_u32_e32 vcc_lo, 0, v25
	v_and_or_b32 v31, 0x1ff, v32, v31
	v_bfe_u32 v48, v20, 20, 11
	v_and_or_b32 v0, 0xffe, v5, v0
	v_lshrrev_b32_e32 v45, 8, v18
	v_cndmask_b32_e64 v25, 0, 1, vcc_lo
	v_cmp_ne_u32_e32 vcc_lo, 0, v27
	v_and_or_b32 v33, 0x1ff, v34, v33
	v_bfe_u32 v46, v18, 20, 11
	v_lshrrev_b32_e32 v47, 8, v20
	v_bfe_u32 v52, v28, 20, 11
	v_cndmask_b32_e64 v27, 0, 1, vcc_lo
	v_cmp_ne_u32_e32 vcc_lo, 0, v29
	v_bfe_u32 v54, v30, 20, 11
	v_sub_nc_u32_e32 v59, 0x3f1, v7
	v_add_nc_u32_e32 v7, 0xfffffc10, v7
	v_sub_nc_u32_e32 v60, 0x3f1, v23
	v_cndmask_b32_e64 v29, 0, 1, vcc_lo
	v_cmp_ne_u32_e32 vcc_lo, 0, v31
	v_and_or_b32 v35, 0x1ff, v36, v35
	v_sub_nc_u32_e32 v61, 0x3f1, v44
	v_sub_nc_u32_e32 v63, 0x3f1, v48
	v_and_or_b32 v13, 0xffe, v21, v13
	v_cndmask_b32_e64 v31, 0, 1, vcc_lo
	v_cmp_ne_u32_e32 vcc_lo, 0, v33
	v_and_or_b32 v15, 0xffe, v43, v15
	v_lshrrev_b32_e32 v49, 8, v26
	v_bfe_u32 v50, v26, 20, 11
	v_lshrrev_b32_e32 v51, 8, v28
	v_cndmask_b32_e64 v33, 0, 1, vcc_lo
	v_cmp_ne_u32_e32 vcc_lo, 0, v35
	v_lshrrev_b32_e32 v53, 8, v30
	v_bfe_u32 v58, v34, 20, 11
	v_add_nc_u32_e32 v23, 0xfffffc10, v23
	v_sub_nc_u32_e32 v62, 0x3f1, v46
	v_cndmask_b32_e64 v35, 0, 1, vcc_lo
	v_cmp_ne_u32_e32 vcc_lo, 0, v0
	v_sub_nc_u32_e32 v65, 0x3f1, v52
	v_sub_nc_u32_e32 v66, 0x3f1, v54
	v_med3_i32 v5, v59, 0, 13
	v_med3_i32 v21, v60, 0, 13
	;; [unrolled: 1-line block ×3, first 2 shown]
	v_and_or_b32 v17, 0xffe, v45, v17
	v_and_or_b32 v19, 0xffe, v47, v19
	v_med3_i32 v47, v63, 0, 13
	v_or_b32_e32 v59, 0x1000, v0
	v_lshl_or_b32 v60, v7, 12, v0
	v_cndmask_b32_e64 v0, 0, 1, vcc_lo
	v_or_b32_e32 v63, 0x1000, v15
	v_cmp_ne_u32_e32 vcc_lo, 0, v13
	v_bfe_u32 v56, v32, 20, 11
	v_lshrrev_b32_e32 v57, 8, v34
	v_add_nc_u32_e32 v44, 0xfffffc10, v44
	v_sub_nc_u32_e32 v64, 0x3f1, v50
	v_sub_nc_u32_e32 v68, 0x3f1, v58
	v_med3_i32 v45, v62, 0, 13
	v_and_or_b32 v25, 0xffe, v49, v25
	v_and_or_b32 v27, 0xffe, v51, v27
	v_med3_i32 v51, v65, 0, 13
	v_and_or_b32 v29, 0xffe, v53, v29
	v_med3_i32 v53, v66, 0, 13
	v_or_b32_e32 v61, 0x1000, v13
	v_lshl_or_b32 v62, v23, 12, v13
	v_cndmask_b32_e64 v13, 0, 1, vcc_lo
	v_or_b32_e32 v65, 0x1000, v17
	v_lshrrev_b32_e32 v66, v43, v63
	v_cmp_ne_u32_e32 vcc_lo, 0, v15
	v_lshrrev_b32_e32 v55, 8, v32
	v_add_nc_u32_e32 v46, 0xfffffc10, v46
	v_sub_nc_u32_e32 v67, 0x3f1, v56
	v_med3_i32 v49, v64, 0, 13
	v_and_or_b32 v33, 0xffe, v57, v33
	v_med3_i32 v57, v68, 0, 13
	v_lshl_or_b32 v64, v44, 12, v15
	v_cndmask_b32_e64 v15, 0, 1, vcc_lo
	v_or_b32_e32 v68, 0x1000, v19
	v_lshrrev_b32_e32 v69, v45, v65
	v_lshlrev_b32_e32 v43, v43, v66
	v_cmp_ne_u32_e32 vcc_lo, 0, v17
	v_or_b32_e32 v70, 0x1000, v25
	v_and_or_b32 v31, 0xffe, v55, v31
	v_med3_i32 v55, v67, 0, 13
	v_lshl_or_b32 v67, v46, 12, v17
	v_cndmask_b32_e64 v17, 0, 1, vcc_lo
	v_lshrrev_b32_e32 v71, v47, v68
	v_lshlrev_b32_e32 v45, v45, v69
	v_cmp_ne_u32_e32 vcc_lo, v43, v63
	v_or_b32_e32 v43, 0x1000, v27
	v_lshrrev_b32_e32 v63, v49, v70
	v_lshlrev_b32_e32 v47, v47, v71
	v_cmp_ne_u32_e64 s0, v45, v65
	v_or_b32_e32 v45, 0x1000, v29
	v_lshrrev_b32_e32 v65, v51, v43
	v_lshlrev_b32_e32 v49, v49, v63
	v_add_nc_u32_e32 v48, 0xfffffc10, v48
	v_cmp_ne_u32_e64 s1, v47, v68
	v_or_b32_e32 v68, 0x1000, v31
	v_lshlrev_b32_e32 v51, v51, v65
	v_cmp_ne_u32_e64 s2, v49, v70
	v_lshrrev_b32_e32 v49, v53, v45
	v_cmp_ne_u32_e64 s3, 0, v19
	v_add_nc_u32_e32 v50, 0xfffffc10, v50
	v_lshl_or_b32 v47, v48, 12, v19
	v_cmp_ne_u32_e64 s4, 0, v25
	v_add_nc_u32_e32 v52, 0xfffffc10, v52
	v_cndmask_b32_e64 v19, 0, 1, s3
	v_cmp_ne_u32_e64 s3, v51, v43
	v_lshrrev_b32_e32 v43, v55, v68
	v_lshlrev_b32_e32 v51, v53, v49
	v_or_b32_e32 v53, 0x1000, v33
	v_lshl_or_b32 v70, v50, 12, v25
	v_cndmask_b32_e64 v25, 0, 1, s4
	v_lshlrev_b32_e32 v55, v55, v43
	v_cmp_ne_u32_e64 s4, v51, v45
	v_lshrrev_b32_e32 v51, v57, v53
	v_cmp_ne_u32_e64 s5, 0, v27
	v_add_nc_u32_e32 v54, 0xfffffc10, v54
	v_lshl_or_b32 v45, v52, 12, v27
	v_cmp_ne_u32_e64 s6, 0, v29
	v_lshlrev_b32_e32 v57, v57, v51
	v_cndmask_b32_e64 v27, 0, 1, s5
	v_cmp_ne_u32_e64 s5, v55, v68
	v_lshrrev_b32_e32 v55, v5, v59
	v_add_nc_u32_e32 v56, 0xfffffc10, v56
	v_lshl_or_b32 v68, v54, 12, v29
	v_cndmask_b32_e64 v29, 0, 1, s6
	v_cmp_ne_u32_e64 s6, v57, v53
	v_lshlrev_b32_e32 v5, v5, v55
	v_cmp_ne_u32_e64 s7, 0, v31
	v_lshrrev_b32_e32 v57, v21, v61
	v_lshl_or_b32 v53, v56, 12, v31
	v_add_nc_u32_e32 v58, 0xfffffc10, v58
	v_lshl_or_b32 v0, v0, 9, 0x7c00
	v_cndmask_b32_e64 v31, 0, 1, s7
	v_cmp_ne_u32_e64 s7, v5, v59
	v_lshlrev_b32_e32 v21, v21, v57
	v_lshl_or_b32 v5, v58, 12, v33
	v_lshl_or_b32 v13, v13, 9, 0x7c00
	;; [unrolled: 1-line block ×3, first 2 shown]
	v_cndmask_b32_e64 v59, 0, 1, s7
	v_cmp_ne_u32_e64 s7, v21, v61
	v_cndmask_b32_e64 v61, 0, 1, vcc_lo
	v_cmp_gt_i32_e32 vcc_lo, 1, v7
	v_lshl_or_b32 v17, v17, 9, 0x7c00
	v_or_b32_e32 v55, v55, v59
	v_cndmask_b32_e64 v21, 0, 1, s7
	v_cndmask_b32_e64 v59, 0, 1, s0
	v_or_b32_e32 v61, v66, v61
	v_cndmask_b32_e64 v66, 0, 1, s2
	v_cndmask_b32_e32 v55, v60, v55, vcc_lo
	v_or_b32_e32 v21, v57, v21
	v_cmp_gt_i32_e32 vcc_lo, 1, v23
	v_cndmask_b32_e64 v57, 0, 1, s1
	v_or_b32_e32 v59, v69, v59
	v_cndmask_b32_e64 v69, 0, 1, s3
	v_or_b32_e32 v63, v63, v66
	v_cndmask_b32_e32 v21, v62, v21, vcc_lo
	v_cmp_gt_i32_e32 vcc_lo, 1, v44
	v_or_b32_e32 v57, v71, v57
	v_cndmask_b32_e64 v71, 0, 1, s4
	v_or_b32_e32 v65, v65, v69
	v_cndmask_b32_e64 v66, 0, 1, s5
	v_cndmask_b32_e32 v60, v64, v61, vcc_lo
	v_cmp_gt_i32_e32 vcc_lo, 1, v46
	v_or_b32_e32 v49, v49, v71
	v_cndmask_b32_e64 v69, 0, 1, s6
	v_or_b32_e32 v43, v43, v66
	v_and_b32_e32 v61, 7, v60
	v_cndmask_b32_e32 v59, v67, v59, vcc_lo
	v_cmp_gt_i32_e32 vcc_lo, 1, v48
	v_or_b32_e32 v51, v51, v69
	v_lshrrev_b32_e32 v60, 2, v60
	v_cmp_lt_i32_e64 s3, 5, v61
	v_and_b32_e32 v62, 7, v59
	v_cndmask_b32_e32 v47, v47, v57, vcc_lo
	v_cmp_gt_i32_e32 vcc_lo, 1, v50
	v_cmp_eq_u32_e64 s4, 3, v61
	v_lshrrev_b32_e32 v59, 2, v59
	v_cmp_lt_i32_e64 s5, 5, v62
	v_cmp_eq_u32_e64 s6, 3, v62
	v_cndmask_b32_e32 v57, v70, v63, vcc_lo
	v_cmp_gt_i32_e32 vcc_lo, 1, v52
	v_and_b32_e32 v63, 7, v47
	v_lshrrev_b32_e32 v47, 2, v47
	v_lshl_or_b32 v19, v19, 9, 0x7c00
	v_and_b32_e32 v64, 7, v57
	v_cndmask_b32_e32 v45, v45, v65, vcc_lo
	v_cmp_gt_i32_e32 vcc_lo, 1, v54
	v_cmp_lt_i32_e64 s7, 5, v63
	v_cmp_eq_u32_e64 s8, 3, v63
	v_cmp_lt_i32_e64 s9, 5, v64
	v_and_b32_e32 v65, 7, v45
	v_cndmask_b32_e32 v49, v68, v49, vcc_lo
	v_cmp_gt_i32_e32 vcc_lo, 1, v56
	v_cmp_eq_u32_e64 s10, 3, v64
	v_lshrrev_b32_e32 v57, 2, v57
	v_cmp_lt_i32_e64 s11, 5, v65
	v_and_b32_e32 v66, 7, v49
	v_cndmask_b32_e32 v43, v53, v43, vcc_lo
	v_cmp_gt_i32_e32 vcc_lo, 1, v58
	v_lshrrev_b32_e32 v53, 2, v55
	v_cmp_eq_u32_e64 s12, 3, v65
	v_lshrrev_b32_e32 v45, 2, v45
	v_and_b32_e32 v67, 7, v43
	v_cndmask_b32_e32 v5, v5, v51, vcc_lo
	v_and_b32_e32 v51, 7, v55
	v_and_b32_e32 v55, 7, v21
	v_lshrrev_b32_e32 v21, 2, v21
	v_cmp_lt_i32_e64 s13, 5, v66
	v_cmp_eq_u32_e64 s14, 3, v66
	v_cmp_lt_i32_e32 vcc_lo, 5, v51
	v_cmp_eq_u32_e64 s0, 3, v51
	v_cmp_lt_i32_e64 s1, 5, v55
	v_cmp_eq_u32_e64 s2, 3, v55
	v_lshrrev_b32_e32 v49, 2, v49
	v_cmp_lt_i32_e64 s15, 5, v67
	s_or_b32 vcc_lo, s0, vcc_lo
	v_cmp_eq_u32_e64 s16, 3, v67
	v_add_co_ci_u32_e32 v51, vcc_lo, 0, v53, vcc_lo
	s_or_b32 vcc_lo, s2, s1
	v_lshrrev_b32_e32 v43, 2, v43
	v_add_co_ci_u32_e32 v21, vcc_lo, 0, v21, vcc_lo
	s_or_b32 vcc_lo, s4, s3
	v_lshrrev_b32_e32 v1, 16, v1
	v_add_co_ci_u32_e32 v53, vcc_lo, 0, v60, vcc_lo
	s_or_b32 vcc_lo, s6, s5
	v_lshl_or_b32 v25, v25, 9, 0x7c00
	v_add_co_ci_u32_e32 v55, vcc_lo, 0, v59, vcc_lo
	s_or_b32 vcc_lo, s8, s7
	v_lshrrev_b32_e32 v14, 16, v14
	v_add_co_ci_u32_e32 v47, vcc_lo, 0, v47, vcc_lo
	s_or_b32 vcc_lo, s10, s9
	v_lshrrev_b32_e32 v16, 16, v16
	;; [unrolled: 3-line block ×3, first 2 shown]
	v_add_co_ci_u32_e32 v45, vcc_lo, 0, v45, vcc_lo
	s_or_b32 vcc_lo, s14, s13
	v_lshl_or_b32 v27, v27, 9, 0x7c00
	v_add_co_ci_u32_e32 v49, vcc_lo, 0, v49, vcc_lo
	s_or_b32 vcc_lo, s16, s15
	v_lshrrev_b32_e32 v18, 16, v18
	v_add_co_ci_u32_e32 v43, vcc_lo, 0, v43, vcc_lo
	v_cmp_gt_i32_e32 vcc_lo, 31, v7
	v_lshrrev_b32_e32 v26, 16, v26
	v_lshl_or_b32 v29, v29, 9, 0x7c00
	v_lshl_or_b32 v31, v31, 9, 0x7c00
	v_and_b32_e32 v68, 7, v5
	v_cndmask_b32_e32 v51, 0x7c00, v51, vcc_lo
	v_cmp_gt_i32_e32 vcc_lo, 31, v23
	v_lshrrev_b32_e32 v28, 16, v28
	v_lshrrev_b32_e32 v5, 2, v5
	v_cmp_eq_u32_e64 s0, 3, v68
	v_lshrrev_b32_e32 v30, 16, v30
	v_cndmask_b32_e32 v21, 0x7c00, v21, vcc_lo
	v_cmp_gt_i32_e32 vcc_lo, 31, v44
	v_cndmask_b32_e32 v53, 0x7c00, v53, vcc_lo
	v_cmp_gt_i32_e32 vcc_lo, 31, v46
	;; [unrolled: 2-line block ×6, first 2 shown]
	v_cndmask_b32_e32 v49, 0x7c00, v49, vcc_lo
	v_cmp_eq_u32_e32 vcc_lo, 0x40f, v7
	v_cndmask_b32_e32 v0, v51, v0, vcc_lo
	v_cmp_eq_u32_e32 vcc_lo, 0x40f, v23
	v_and_or_b32 v0, 0x8000, v1, v0
	v_cndmask_b32_e32 v7, v21, v13, vcc_lo
	v_cmp_eq_u32_e32 vcc_lo, 0x40f, v44
	v_and_b32_e32 v0, 0xffff, v0
	v_and_or_b32 v1, 0x8000, v14, v7
	v_cndmask_b32_e32 v13, v53, v15, vcc_lo
	v_cmp_eq_u32_e32 vcc_lo, 0x40f, v46
	v_lshl_or_b32 v0, v1, 16, v0
	v_and_or_b32 v7, 0x8000, v16, v13
	v_cndmask_b32_e32 v15, v55, v17, vcc_lo
	v_cmp_eq_u32_e32 vcc_lo, 0x40f, v48
	v_and_b32_e32 v7, 0xffff, v7
	v_and_or_b32 v13, 0x8000, v18, v15
	v_cndmask_b32_e32 v17, v47, v19, vcc_lo
	v_cmp_eq_u32_e32 vcc_lo, 0x40f, v50
	v_lshl_or_b32 v1, v13, 16, v7
	;; [unrolled: 8-line block ×3, first 2 shown]
	global_store_dword v[9:10], v0, off
	global_store_dword v[11:12], v1, off
	;; [unrolled: 1-line block ×3, first 2 shown]
	v_cndmask_b32_e32 v23, v49, v29, vcc_lo
	v_cmp_gt_i32_e32 vcc_lo, 31, v56
	v_lshrrev_b32_e32 v0, 8, v36
	v_bfe_u32 v7, v36, 20, 11
	v_and_or_b32 v16, 0x8000, v28, v21
	v_and_or_b32 v17, 0x8000, v30, v23
	v_cndmask_b32_e32 v13, 0x7c00, v43, vcc_lo
	v_cmp_eq_u32_e32 vcc_lo, 0x40f, v56
	v_lshrrev_b32_e32 v15, 16, v24
	v_and_b32_e32 v16, 0xffff, v16
	v_lshrrev_b32_e32 v10, 16, v32
	s_waitcnt vmcnt(3)
	v_mul_f16_sdwa v21, v24, v2 dst_sel:DWORD dst_unused:UNUSED_PAD src0_sel:DWORD src1_sel:WORD_1
	v_cndmask_b32_e32 v9, v13, v31, vcc_lo
	v_and_or_b32 v13, 0xffe, v0, v35
	v_sub_nc_u32_e32 v0, 0x3f1, v7
	v_cmp_lt_i32_e32 vcc_lo, 5, v68
	v_lshl_or_b32 v14, v17, 16, v16
	v_mul_f16_sdwa v18, v15, v2 dst_sel:DWORD dst_unused:UNUSED_PAD src0_sel:DWORD src1_sel:WORD_1
	v_or_b32_e32 v11, 0x1000, v13
	v_med3_i32 v12, v0, 0, 13
	v_mul_f64 v[0:1], v[41:42], s[18:19]
	s_or_b32 vcc_lo, s0, vcc_lo
	v_and_or_b32 v19, 0x8000, v10, v9
	v_add_co_ci_u32_e32 v5, vcc_lo, 0, v5, vcc_lo
	v_cmp_ne_u32_e32 vcc_lo, 0, v33
	v_lshrrev_b32_e32 v17, v12, v11
	v_fmac_f16_e32 v18, v24, v2
	v_lshrrev_b32_e32 v10, 16, v34
	v_add_nc_u32_e32 v7, 0xfffffc10, v7
	v_cndmask_b32_e64 v16, 0, 1, vcc_lo
	v_cmp_gt_i32_e32 vcc_lo, 31, v58
	v_lshlrev_b32_e32 v9, v12, v17
	v_cvt_f32_f16_e32 v12, v18
	v_and_b32_e32 v18, 0xffff, v19
	v_lshl_or_b32 v16, v16, 9, 0x7c00
	v_cndmask_b32_e32 v5, 0x7c00, v5, vcc_lo
	v_cmp_eq_u32_e32 vcc_lo, 0x40f, v58
	global_store_dword v[39:40], v14, off
	v_fma_f16 v2, v2, v15, -v21
	v_cndmask_b32_e32 v5, v5, v16, vcc_lo
	v_cmp_ne_u32_e32 vcc_lo, v9, v11
	v_and_or_b32 v0, 0x1ff, v1, v0
	v_lshrrev_b32_e32 v16, 8, v1
	v_cvt_f32_f16_e32 v2, v2
	v_and_or_b32 v5, 0x8000, v10, v5
	v_cndmask_b32_e64 v11, 0, 1, vcc_lo
	v_cmp_ne_u32_e32 vcc_lo, 0, v0
	v_cvt_f64_f32_e32 v[9:10], v12
	v_lshl_or_b32 v12, v7, 12, v13
	v_lshl_or_b32 v5, v5, 16, v18
	v_or_b32_e32 v11, v17, v11
	v_cndmask_b32_e64 v0, 0, 1, vcc_lo
	v_bfe_u32 v17, v1, 20, 11
	v_cmp_gt_i32_e32 vcc_lo, 1, v7
	v_lshrrev_b32_e32 v1, 16, v1
	v_and_or_b32 v0, 0xffe, v16, v0
	v_cndmask_b32_e32 v19, v12, v11, vcc_lo
	v_sub_nc_u32_e32 v11, 0x3f1, v17
	v_or_b32_e32 v16, 0x1000, v0
	v_and_b32_e32 v14, 7, v19
	v_med3_i32 v18, v11, 0, 13
	v_add_co_u32 v11, vcc_lo, v39, s17
	v_add_co_ci_u32_e32 v12, vcc_lo, s20, v40, vcc_lo
	v_lshrrev_b32_e32 v20, v18, v16
	v_cmp_lt_i32_e32 vcc_lo, 5, v14
	v_cmp_eq_u32_e64 s0, 3, v14
	v_mul_f64 v[9:10], v[9:10], s[18:19]
	global_store_dword v[11:12], v5, off
	v_lshrrev_b32_e32 v5, 2, v19
	v_lshlrev_b32_e32 v14, v18, v20
	s_or_b32 vcc_lo, s0, vcc_lo
	v_add_nc_u32_e32 v19, 0xfffffc10, v17
	v_add_co_ci_u32_e32 v5, vcc_lo, 0, v5, vcc_lo
	v_cmp_ne_u32_e32 vcc_lo, v14, v16
	v_add_nc_u32_e32 v14, 0x800, v22
	v_cvt_f64_f32_e32 v[15:16], v2
	v_cndmask_b32_e64 v18, 0, 1, vcc_lo
	v_cmp_ne_u32_e32 vcc_lo, 0, v13
	ds_read2_b32 v[13:14], v14 offset0:13 offset1:88
	v_or_b32_e32 v2, v20, v18
	v_cndmask_b32_e64 v17, 0, 1, vcc_lo
	v_cmp_gt_i32_e32 vcc_lo, 31, v7
	v_lshl_or_b32 v18, v19, 12, v0
	v_and_or_b32 v9, 0x1ff, v10, v9
	v_bfe_u32 v20, v10, 20, 11
	v_lshl_or_b32 v17, v17, 9, 0x7c00
	v_cndmask_b32_e32 v5, 0x7c00, v5, vcc_lo
	v_cmp_gt_i32_e32 vcc_lo, 1, v19
	v_cndmask_b32_e32 v2, v18, v2, vcc_lo
	v_cmp_ne_u32_e32 vcc_lo, 0, v9
	v_lshrrev_b32_e32 v18, 8, v10
	v_mul_f64 v[15:16], v[15:16], s[18:19]
	s_waitcnt lgkmcnt(0)
	v_lshrrev_b32_e32 v21, 16, v13
	v_cndmask_b32_e64 v9, 0, 1, vcc_lo
	v_cmp_eq_u32_e32 vcc_lo, 0x40f, v7
	v_and_b32_e32 v7, 7, v2
	v_lshrrev_b32_e32 v2, 2, v2
	s_waitcnt vmcnt(2)
	v_mul_f16_sdwa v23, v21, v8 dst_sel:DWORD dst_unused:UNUSED_PAD src0_sel:DWORD src1_sel:WORD_1
	v_and_or_b32 v9, 0xffe, v18, v9
	v_sub_nc_u32_e32 v18, 0x3f1, v20
	v_cndmask_b32_e32 v5, v5, v17, vcc_lo
	v_cmp_lt_i32_e32 vcc_lo, 5, v7
	v_cmp_eq_u32_e64 s0, 3, v7
	v_or_b32_e32 v22, 0x1000, v9
	v_med3_i32 v18, v18, 0, 13
	v_lshrrev_b32_e32 v17, 16, v36
	v_fmac_f16_e32 v23, v13, v8
	s_or_b32 vcc_lo, s0, vcc_lo
	v_add_nc_u32_e32 v20, 0xfffffc10, v20
	v_add_co_ci_u32_e32 v2, vcc_lo, 0, v2, vcc_lo
	v_lshrrev_b32_e32 v7, v18, v22
	v_cmp_ne_u32_e32 vcc_lo, 0, v0
	v_and_or_b32 v5, 0x8000, v17, v5
	v_cvt_f32_f16_e32 v17, v23
	v_and_or_b32 v15, 0x1ff, v16, v15
	v_lshlrev_b32_e32 v23, v18, v7
	v_cndmask_b32_e64 v0, 0, 1, vcc_lo
	v_cmp_gt_i32_e32 vcc_lo, 31, v19
	v_cvt_f64_f32_e32 v[17:18], v17
	v_and_b32_e32 v5, 0xffff, v5
	v_mul_f16_sdwa v13, v13, v8 dst_sel:DWORD dst_unused:UNUSED_PAD src0_sel:DWORD src1_sel:WORD_1
	v_lshl_or_b32 v0, v0, 9, 0x7c00
	v_cndmask_b32_e32 v2, 0x7c00, v2, vcc_lo
	v_cmp_ne_u32_e32 vcc_lo, v23, v22
	v_fma_f16 v13, v8, v21, -v13
	v_cndmask_b32_e64 v22, 0, 1, vcc_lo
	v_cmp_eq_u32_e32 vcc_lo, 0x40f, v19
	v_lshrrev_b32_e32 v19, 8, v16
	v_cndmask_b32_e32 v0, v2, v0, vcc_lo
	v_cmp_ne_u32_e32 vcc_lo, 0, v15
	v_or_b32_e32 v2, v7, v22
	v_bfe_u32 v22, v16, 20, 11
	v_lshl_or_b32 v7, v20, 12, v9
	v_lshrrev_b32_e32 v16, 16, v16
	v_cndmask_b32_e64 v15, 0, 1, vcc_lo
	v_cmp_gt_i32_e32 vcc_lo, 1, v20
	v_and_or_b32 v15, 0xffe, v19, v15
	v_sub_nc_u32_e32 v19, 0x3f1, v22
	v_cndmask_b32_e32 v2, v7, v2, vcc_lo
	v_and_or_b32 v7, 0x8000, v1, v0
	v_mul_f64 v[0:1], v[17:18], s[18:19]
	v_or_b32_e32 v24, 0x1000, v15
	v_med3_i32 v17, v19, 0, 13
	v_and_b32_e32 v23, 7, v2
	v_lshl_or_b32 v18, v7, 16, v5
	v_lshrrev_b32_e32 v2, 2, v2
	v_add_co_u32 v7, s1, v11, s17
	v_lshrrev_b32_e32 v5, v17, v24
	v_cmp_lt_i32_e32 vcc_lo, 5, v23
	v_cmp_eq_u32_e64 s0, 3, v23
	v_add_co_ci_u32_e64 v8, s1, s20, v12, s1
	v_lshlrev_b32_e32 v11, v17, v5
	v_cvt_f32_f16_e32 v12, v13
	s_or_b32 vcc_lo, s0, vcc_lo
	v_add_nc_u32_e32 v17, 0xfffffc10, v22
	v_add_co_ci_u32_e32 v2, vcc_lo, 0, v2, vcc_lo
	v_cmp_ne_u32_e32 vcc_lo, v11, v24
	v_cvt_f64_f32_e32 v[11:12], v12
	v_and_or_b32 v0, 0x1ff, v1, v0
	v_lshrrev_b32_e32 v19, 8, v1
	v_cndmask_b32_e64 v13, 0, 1, vcc_lo
	v_cmp_gt_i32_e32 vcc_lo, 31, v20
	v_bfe_u32 v21, v1, 20, 11
	v_or_b32_e32 v5, v5, v13
	v_cndmask_b32_e32 v2, 0x7c00, v2, vcc_lo
	v_cmp_ne_u32_e32 vcc_lo, 0, v0
	v_lshl_or_b32 v13, v17, 12, v15
	v_cndmask_b32_e64 v0, 0, 1, vcc_lo
	v_cmp_ne_u32_e32 vcc_lo, 0, v9
	v_and_or_b32 v0, 0xffe, v19, v0
	v_cndmask_b32_e64 v9, 0, 1, vcc_lo
	v_cmp_gt_i32_e32 vcc_lo, 1, v17
	v_lshrrev_b32_e32 v19, 16, v14
	v_mul_f64 v[11:12], v[11:12], s[18:19]
	v_or_b32_e32 v23, 0x1000, v0
	v_lshl_or_b32 v9, v9, 9, 0x7c00
	v_cndmask_b32_e32 v5, v13, v5, vcc_lo
	v_sub_nc_u32_e32 v13, 0x3f1, v21
	v_cmp_eq_u32_e32 vcc_lo, 0x40f, v20
	s_waitcnt vmcnt(1)
	v_mul_f16_sdwa v24, v19, v6 dst_sel:DWORD dst_unused:UNUSED_PAD src0_sel:DWORD src1_sel:WORD_1
	v_add_nc_u32_e32 v21, 0xfffffc10, v21
	v_and_b32_e32 v22, 7, v5
	v_med3_i32 v13, v13, 0, 13
	v_cndmask_b32_e32 v2, v2, v9, vcc_lo
	v_lshrrev_b32_e32 v9, 16, v10
	v_lshrrev_b32_e32 v5, 2, v5
	v_cmp_lt_i32_e32 vcc_lo, 5, v22
	v_lshrrev_b32_e32 v20, v13, v23
	v_cmp_eq_u32_e64 s0, 3, v22
	v_and_or_b32 v2, 0x8000, v9, v2
	v_fmac_f16_e32 v24, v14, v6
	v_lshlrev_b32_e32 v9, v13, v20
	s_or_b32 vcc_lo, s0, vcc_lo
	v_and_b32_e32 v2, 0xffff, v2
	v_add_co_ci_u32_e32 v5, vcc_lo, 0, v5, vcc_lo
	v_cmp_ne_u32_e32 vcc_lo, v9, v23
	v_cvt_f32_f16_e32 v10, v24
	v_and_or_b32 v11, 0x1ff, v12, v11
	v_bfe_u32 v22, v12, 20, 11
	v_cndmask_b32_e64 v13, 0, 1, vcc_lo
	v_cmp_ne_u32_e32 vcc_lo, 0, v15
	v_cvt_f64_f32_e32 v[9:10], v10
	v_or_b32_e32 v13, v20, v13
	v_cndmask_b32_e64 v15, 0, 1, vcc_lo
	v_cmp_gt_i32_e32 vcc_lo, 31, v17
	v_lshl_or_b32 v20, v21, 12, v0
	v_lshl_or_b32 v15, v15, 9, 0x7c00
	v_cndmask_b32_e32 v5, 0x7c00, v5, vcc_lo
	v_cmp_gt_i32_e32 vcc_lo, 1, v21
	v_cndmask_b32_e32 v13, v20, v13, vcc_lo
	v_cmp_ne_u32_e32 vcc_lo, 0, v11
	v_lshrrev_b32_e32 v20, 8, v12
	v_lshrrev_b32_e32 v12, 16, v12
	v_and_b32_e32 v23, 7, v13
	v_cndmask_b32_e64 v11, 0, 1, vcc_lo
	v_cmp_eq_u32_e32 vcc_lo, 0x40f, v17
	v_mul_f64 v[9:10], v[9:10], s[18:19]
	v_lshrrev_b32_e32 v13, 2, v13
	v_cmp_eq_u32_e64 s0, 3, v23
	v_and_or_b32 v11, 0xffe, v20, v11
	v_cndmask_b32_e32 v5, v5, v15, vcc_lo
	v_sub_nc_u32_e32 v15, 0x3f1, v22
	v_cmp_lt_i32_e32 vcc_lo, 5, v23
	v_or_b32_e32 v17, 0x1000, v11
	v_and_or_b32 v5, 0x8000, v16, v5
	v_med3_i32 v15, v15, 0, 13
	s_or_b32 vcc_lo, s0, vcc_lo
	v_add_co_ci_u32_e32 v13, vcc_lo, 0, v13, vcc_lo
	v_lshrrev_b32_e32 v16, v15, v17
	v_cmp_ne_u32_e32 vcc_lo, 0, v0
	v_lshl_or_b32 v20, v5, 16, v2
	v_lshlrev_b32_e32 v2, v15, v16
	v_cndmask_b32_e64 v0, 0, 1, vcc_lo
	v_cmp_gt_i32_e32 vcc_lo, 31, v21
	v_and_or_b32 v9, 0x1ff, v10, v9
	v_add_nc_u32_e32 v15, 0xfffffc10, v22
	v_lshl_or_b32 v0, v0, 9, 0x7c00
	v_cndmask_b32_e32 v5, 0x7c00, v13, vcc_lo
	v_cmp_ne_u32_e32 vcc_lo, v2, v17
	v_mul_f16_sdwa v13, v14, v6 dst_sel:DWORD dst_unused:UNUSED_PAD src0_sel:DWORD src1_sel:WORD_1
	v_lshrrev_b32_e32 v14, 8, v10
	v_lshrrev_b32_e32 v17, 16, v3
	v_cndmask_b32_e64 v2, 0, 1, vcc_lo
	v_cmp_eq_u32_e32 vcc_lo, 0x40f, v21
	v_fma_f16 v6, v6, v19, -v13
	s_waitcnt vmcnt(0)
	v_mul_f16_sdwa v23, v17, v4 dst_sel:DWORD dst_unused:UNUSED_PAD src0_sel:DWORD src1_sel:WORD_1
	v_cndmask_b32_e32 v13, v5, v0, vcc_lo
	v_cmp_ne_u32_e32 vcc_lo, 0, v9
	v_cvt_f32_f16_e32 v5, v6
	v_or_b32_e32 v0, v16, v2
	v_lshl_or_b32 v2, v15, 12, v11
	v_bfe_u32 v16, v10, 20, 11
	v_cndmask_b32_e64 v9, 0, 1, vcc_lo
	v_cmp_gt_i32_e32 vcc_lo, 1, v15
	v_cvt_f64_f32_e32 v[5:6], v5
	v_fmac_f16_e32 v23, v3, v4
	v_mul_f16_sdwa v3, v3, v4 dst_sel:DWORD dst_unused:UNUSED_PAD src0_sel:DWORD src1_sel:WORD_1
	v_and_or_b32 v9, 0xffe, v14, v9
	v_cndmask_b32_e32 v2, v2, v0, vcc_lo
	v_sub_nc_u32_e32 v0, 0x3f1, v16
	v_lshrrev_b32_e32 v14, 16, v1
	v_add_nc_u32_e32 v16, 0xfffffc10, v16
	v_or_b32_e32 v21, 0x1000, v9
	v_and_b32_e32 v19, 7, v2
	v_med3_i32 v22, v0, 0, 13
	v_add_co_u32 v0, vcc_lo, v7, s17
	v_add_co_ci_u32_e32 v1, vcc_lo, s20, v8, vcc_lo
	v_lshrrev_b32_e32 v25, v22, v21
	v_cmp_lt_i32_e32 vcc_lo, 5, v19
	v_cmp_eq_u32_e64 s0, 3, v19
	v_lshrrev_b32_e32 v2, 2, v2
	v_and_or_b32 v24, 0x8000, v14, v13
	v_lshlrev_b32_e32 v19, v22, v25
	v_cvt_f32_f16_e32 v13, v23
	s_or_b32 vcc_lo, s0, vcc_lo
	v_mul_f64 v[5:6], v[5:6], s[18:19]
	v_add_co_ci_u32_e32 v2, vcc_lo, 0, v2, vcc_lo
	v_cmp_ne_u32_e32 vcc_lo, v19, v21
	v_cvt_f64_f32_e32 v[13:14], v13
	v_lshl_or_b32 v21, v16, 12, v9
	v_fma_f16 v3, v4, v17, -v3
	v_lshrrev_b32_e32 v10, 16, v10
	v_cndmask_b32_e64 v19, 0, 1, vcc_lo
	v_cmp_ne_u32_e32 vcc_lo, 0, v11
	v_cvt_f32_f16_e32 v3, v3
	v_or_b32_e32 v19, v25, v19
	v_cndmask_b32_e64 v11, 0, 1, vcc_lo
	v_cmp_gt_i32_e32 vcc_lo, 31, v15
	v_lshl_or_b32 v4, v11, 9, 0x7c00
	v_cndmask_b32_e32 v2, 0x7c00, v2, vcc_lo
	v_cmp_gt_i32_e32 vcc_lo, 1, v16
	v_and_or_b32 v17, 0x1ff, v6, v5
	v_cndmask_b32_e32 v11, v21, v19, vcc_lo
	v_cmp_eq_u32_e32 vcc_lo, 0x40f, v15
	v_and_b32_e32 v19, 7, v11
	v_cndmask_b32_e32 v15, v2, v4, vcc_lo
	v_mul_f64 v[4:5], v[13:14], s[18:19]
	v_cvt_f64_f32_e32 v[2:3], v3
	v_cmp_ne_u32_e32 vcc_lo, 0, v17
	v_lshrrev_b32_e32 v14, 8, v6
	v_bfe_u32 v17, v6, 20, 11
	v_cmp_eq_u32_e64 s0, 3, v19
	v_lshrrev_b32_e32 v11, 2, v11
	v_cndmask_b32_e64 v13, 0, 1, vcc_lo
	v_cmp_lt_i32_e32 vcc_lo, 5, v19
	v_and_or_b32 v12, 0x8000, v12, v15
	v_and_b32_e32 v15, 0xffff, v24
	v_lshrrev_b32_e32 v6, 16, v6
	v_and_or_b32 v13, 0xffe, v14, v13
	v_sub_nc_u32_e32 v14, 0x3f1, v17
	s_or_b32 vcc_lo, s0, vcc_lo
	v_lshl_or_b32 v12, v12, 16, v15
	v_add_co_ci_u32_e32 v11, vcc_lo, 0, v11, vcc_lo
	v_or_b32_e32 v15, 0x1000, v13
	v_med3_i32 v14, v14, 0, 13
	v_cmp_ne_u32_e32 vcc_lo, 0, v9
	v_and_or_b32 v4, 0x1ff, v5, v4
	v_mul_f64 v[2:3], v[2:3], s[18:19]
	v_lshrrev_b32_e32 v19, v14, v15
	v_cndmask_b32_e64 v9, 0, 1, vcc_lo
	v_cmp_gt_i32_e32 vcc_lo, 31, v16
	v_lshrrev_b32_e32 v21, 8, v5
	v_bfe_u32 v22, v5, 20, 11
	v_lshlrev_b32_e32 v14, v14, v19
	v_lshl_or_b32 v9, v9, 9, 0x7c00
	v_cndmask_b32_e32 v11, 0x7c00, v11, vcc_lo
	v_cmp_ne_u32_e32 vcc_lo, 0, v4
	v_lshrrev_b32_e32 v5, 16, v5
	v_cndmask_b32_e64 v4, 0, 1, vcc_lo
	v_cmp_ne_u32_e32 vcc_lo, v14, v15
	v_add_nc_u32_e32 v15, 0xfffffc10, v17
	v_sub_nc_u32_e32 v17, 0x3f1, v22
	v_and_or_b32 v4, 0xffe, v21, v4
	v_cndmask_b32_e64 v14, 0, 1, vcc_lo
	v_cmp_eq_u32_e32 vcc_lo, 0x40f, v16
	v_med3_i32 v17, v17, 0, 13
	v_and_or_b32 v2, 0x1ff, v3, v2
	v_or_b32_e32 v16, 0x1000, v4
	v_bfe_u32 v21, v3, 20, 11
	v_cndmask_b32_e32 v9, v11, v9, vcc_lo
	v_or_b32_e32 v11, v19, v14
	v_lshl_or_b32 v14, v15, 12, v13
	v_cmp_gt_i32_e32 vcc_lo, 1, v15
	v_lshrrev_b32_e32 v19, 8, v3
	v_and_or_b32 v9, 0x8000, v10, v9
	v_sub_nc_u32_e32 v10, 0x3f1, v21
	v_cndmask_b32_e32 v11, v14, v11, vcc_lo
	v_lshrrev_b32_e32 v14, v17, v16
	v_cmp_ne_u32_e32 vcc_lo, 0, v2
	v_med3_i32 v10, v10, 0, 13
	v_and_b32_e32 v9, 0xffff, v9
	v_and_b32_e32 v23, 7, v11
	v_lshlrev_b32_e32 v17, v17, v14
	v_cndmask_b32_e64 v2, 0, 1, vcc_lo
	v_lshrrev_b32_e32 v11, 2, v11
	v_cmp_lt_i32_e32 vcc_lo, 5, v23
	v_cmp_ne_u32_e64 s0, v17, v16
	v_and_or_b32 v2, 0xffe, v19, v2
	v_add_nc_u32_e32 v19, 0xfffffc10, v22
	v_cndmask_b32_e64 v16, 0, 1, s0
	v_cmp_eq_u32_e64 s0, 3, v23
	v_or_b32_e32 v17, 0x1000, v2
	v_lshl_or_b32 v22, v19, 12, v4
	v_or_b32_e32 v14, v14, v16
	s_or_b32 vcc_lo, s0, vcc_lo
	v_lshrrev_b32_e32 v16, v10, v17
	v_add_co_ci_u32_e32 v11, vcc_lo, 0, v11, vcc_lo
	v_cmp_gt_i32_e32 vcc_lo, 1, v19
	v_lshlrev_b32_e32 v10, v10, v16
	v_cndmask_b32_e32 v14, v22, v14, vcc_lo
	v_cmp_ne_u32_e32 vcc_lo, 0, v13
	v_cndmask_b32_e64 v13, 0, 1, vcc_lo
	v_cmp_ne_u32_e32 vcc_lo, v10, v17
	v_add_nc_u32_e32 v17, 0xfffffc10, v21
	v_and_b32_e32 v21, 7, v14
	v_lshl_or_b32 v13, v13, 9, 0x7c00
	v_cndmask_b32_e64 v10, 0, 1, vcc_lo
	v_cmp_gt_i32_e32 vcc_lo, 31, v15
	v_cmp_gt_i32_e64 s1, 1, v17
	v_cmp_eq_u32_e64 s0, 3, v21
	v_or_b32_e32 v10, v16, v10
	v_lshl_or_b32 v16, v17, 12, v2
	v_cndmask_b32_e32 v11, 0x7c00, v11, vcc_lo
	v_cmp_lt_i32_e32 vcc_lo, 5, v21
	v_cndmask_b32_e64 v10, v16, v10, s1
	v_cmp_eq_u32_e64 s1, 0x40f, v15
	s_or_b32 vcc_lo, s0, vcc_lo
	v_cndmask_b32_e64 v11, v11, v13, s1
	v_lshrrev_b32_e32 v13, 2, v14
	v_and_b32_e32 v14, 7, v10
	v_lshrrev_b32_e32 v10, 2, v10
	v_cmp_gt_i32_e64 s1, 31, v19
	v_and_or_b32 v6, 0x8000, v6, v11
	v_add_co_ci_u32_e32 v13, vcc_lo, 0, v13, vcc_lo
	v_cmp_ne_u32_e32 vcc_lo, 0, v4
	v_cmp_eq_u32_e64 s0, 3, v14
	v_lshl_or_b32 v6, v6, 16, v9
	v_cndmask_b32_e64 v13, 0x7c00, v13, s1
	v_cndmask_b32_e64 v4, 0, 1, vcc_lo
	v_cmp_lt_i32_e32 vcc_lo, 5, v14
	v_lshl_or_b32 v4, v4, 9, 0x7c00
	s_or_b32 vcc_lo, s0, vcc_lo
	v_add_co_ci_u32_e32 v10, vcc_lo, 0, v10, vcc_lo
	v_cmp_ne_u32_e32 vcc_lo, 0, v2
	v_cndmask_b32_e64 v2, 0, 1, vcc_lo
	v_cmp_eq_u32_e32 vcc_lo, 0x40f, v19
	v_lshl_or_b32 v2, v2, 9, 0x7c00
	v_cndmask_b32_e32 v4, v13, v4, vcc_lo
	v_cmp_gt_i32_e32 vcc_lo, 31, v17
	v_and_or_b32 v4, 0x8000, v5, v4
	v_cndmask_b32_e32 v10, 0x7c00, v10, vcc_lo
	v_cmp_eq_u32_e32 vcc_lo, 0x40f, v17
	v_cndmask_b32_e32 v5, v10, v2, vcc_lo
	v_lshrrev_b32_e32 v10, 16, v3
	v_add_co_u32 v2, vcc_lo, v0, s17
	v_add_co_ci_u32_e32 v3, vcc_lo, s20, v1, vcc_lo
	v_and_or_b32 v9, 0x8000, v10, v5
	v_and_b32_e32 v10, 0xffff, v4
	v_add_co_u32 v4, vcc_lo, v2, s17
	v_add_co_ci_u32_e32 v5, vcc_lo, s20, v3, vcc_lo
	v_lshl_or_b32 v11, v9, 16, v10
	v_add_co_u32 v9, vcc_lo, v4, s17
	v_add_co_ci_u32_e32 v10, vcc_lo, s20, v5, vcc_lo
	global_store_dword v[7:8], v18, off
	global_store_dword v[0:1], v20, off
	;; [unrolled: 1-line block ×5, first 2 shown]
.LBB0_31:
	s_endpgm
	.section	.rodata,"a",@progbits
	.p2align	6, 0x0
	.amdhsa_kernel bluestein_single_fwd_len750_dim1_half_op_CI_CI
		.amdhsa_group_segment_fixed_size 3000
		.amdhsa_private_segment_fixed_size 0
		.amdhsa_kernarg_size 104
		.amdhsa_user_sgpr_count 6
		.amdhsa_user_sgpr_private_segment_buffer 1
		.amdhsa_user_sgpr_dispatch_ptr 0
		.amdhsa_user_sgpr_queue_ptr 0
		.amdhsa_user_sgpr_kernarg_segment_ptr 1
		.amdhsa_user_sgpr_dispatch_id 0
		.amdhsa_user_sgpr_flat_scratch_init 0
		.amdhsa_user_sgpr_private_segment_size 0
		.amdhsa_wavefront_size32 1
		.amdhsa_uses_dynamic_stack 0
		.amdhsa_system_sgpr_private_segment_wavefront_offset 0
		.amdhsa_system_sgpr_workgroup_id_x 1
		.amdhsa_system_sgpr_workgroup_id_y 0
		.amdhsa_system_sgpr_workgroup_id_z 0
		.amdhsa_system_sgpr_workgroup_info 0
		.amdhsa_system_vgpr_workitem_id 0
		.amdhsa_next_free_vgpr 74
		.amdhsa_next_free_sgpr 21
		.amdhsa_reserve_vcc 1
		.amdhsa_reserve_flat_scratch 0
		.amdhsa_float_round_mode_32 0
		.amdhsa_float_round_mode_16_64 0
		.amdhsa_float_denorm_mode_32 3
		.amdhsa_float_denorm_mode_16_64 3
		.amdhsa_dx10_clamp 1
		.amdhsa_ieee_mode 1
		.amdhsa_fp16_overflow 0
		.amdhsa_workgroup_processor_mode 1
		.amdhsa_memory_ordered 1
		.amdhsa_forward_progress 0
		.amdhsa_shared_vgpr_count 0
		.amdhsa_exception_fp_ieee_invalid_op 0
		.amdhsa_exception_fp_denorm_src 0
		.amdhsa_exception_fp_ieee_div_zero 0
		.amdhsa_exception_fp_ieee_overflow 0
		.amdhsa_exception_fp_ieee_underflow 0
		.amdhsa_exception_fp_ieee_inexact 0
		.amdhsa_exception_int_div_zero 0
	.end_amdhsa_kernel
	.text
.Lfunc_end0:
	.size	bluestein_single_fwd_len750_dim1_half_op_CI_CI, .Lfunc_end0-bluestein_single_fwd_len750_dim1_half_op_CI_CI
                                        ; -- End function
	.section	.AMDGPU.csdata,"",@progbits
; Kernel info:
; codeLenInByte = 13468
; NumSgprs: 23
; NumVgprs: 74
; ScratchSize: 0
; MemoryBound: 0
; FloatMode: 240
; IeeeMode: 1
; LDSByteSize: 3000 bytes/workgroup (compile time only)
; SGPRBlocks: 2
; VGPRBlocks: 9
; NumSGPRsForWavesPerEU: 23
; NumVGPRsForWavesPerEU: 74
; Occupancy: 12
; WaveLimiterHint : 1
; COMPUTE_PGM_RSRC2:SCRATCH_EN: 0
; COMPUTE_PGM_RSRC2:USER_SGPR: 6
; COMPUTE_PGM_RSRC2:TRAP_HANDLER: 0
; COMPUTE_PGM_RSRC2:TGID_X_EN: 1
; COMPUTE_PGM_RSRC2:TGID_Y_EN: 0
; COMPUTE_PGM_RSRC2:TGID_Z_EN: 0
; COMPUTE_PGM_RSRC2:TIDIG_COMP_CNT: 0
	.text
	.p2alignl 6, 3214868480
	.fill 48, 4, 3214868480
	.type	__hip_cuid_c5a81b0fed1f9c5,@object ; @__hip_cuid_c5a81b0fed1f9c5
	.section	.bss,"aw",@nobits
	.globl	__hip_cuid_c5a81b0fed1f9c5
__hip_cuid_c5a81b0fed1f9c5:
	.byte	0                               ; 0x0
	.size	__hip_cuid_c5a81b0fed1f9c5, 1

	.ident	"AMD clang version 19.0.0git (https://github.com/RadeonOpenCompute/llvm-project roc-6.4.0 25133 c7fe45cf4b819c5991fe208aaa96edf142730f1d)"
	.section	".note.GNU-stack","",@progbits
	.addrsig
	.addrsig_sym __hip_cuid_c5a81b0fed1f9c5
	.amdgpu_metadata
---
amdhsa.kernels:
  - .args:
      - .actual_access:  read_only
        .address_space:  global
        .offset:         0
        .size:           8
        .value_kind:     global_buffer
      - .actual_access:  read_only
        .address_space:  global
        .offset:         8
        .size:           8
        .value_kind:     global_buffer
      - .actual_access:  read_only
        .address_space:  global
        .offset:         16
        .size:           8
        .value_kind:     global_buffer
      - .actual_access:  read_only
        .address_space:  global
        .offset:         24
        .size:           8
        .value_kind:     global_buffer
      - .actual_access:  read_only
        .address_space:  global
        .offset:         32
        .size:           8
        .value_kind:     global_buffer
      - .offset:         40
        .size:           8
        .value_kind:     by_value
      - .address_space:  global
        .offset:         48
        .size:           8
        .value_kind:     global_buffer
      - .address_space:  global
        .offset:         56
        .size:           8
        .value_kind:     global_buffer
      - .address_space:  global
        .offset:         64
        .size:           8
        .value_kind:     global_buffer
      - .address_space:  global
        .offset:         72
        .size:           8
        .value_kind:     global_buffer
      - .offset:         80
        .size:           4
        .value_kind:     by_value
      - .address_space:  global
        .offset:         88
        .size:           8
        .value_kind:     global_buffer
      - .address_space:  global
        .offset:         96
        .size:           8
        .value_kind:     global_buffer
    .group_segment_fixed_size: 3000
    .kernarg_segment_align: 8
    .kernarg_segment_size: 104
    .language:       OpenCL C
    .language_version:
      - 2
      - 0
    .max_flat_workgroup_size: 250
    .name:           bluestein_single_fwd_len750_dim1_half_op_CI_CI
    .private_segment_fixed_size: 0
    .sgpr_count:     23
    .sgpr_spill_count: 0
    .symbol:         bluestein_single_fwd_len750_dim1_half_op_CI_CI.kd
    .uniform_work_group_size: 1
    .uses_dynamic_stack: false
    .vgpr_count:     74
    .vgpr_spill_count: 0
    .wavefront_size: 32
    .workgroup_processor_mode: 1
amdhsa.target:   amdgcn-amd-amdhsa--gfx1030
amdhsa.version:
  - 1
  - 2
...

	.end_amdgpu_metadata
